;; amdgpu-corpus repo=ROCm/rocFFT kind=compiled arch=gfx906 opt=O3
	.text
	.amdgcn_target "amdgcn-amd-amdhsa--gfx906"
	.amdhsa_code_object_version 6
	.protected	bluestein_single_fwd_len1122_dim1_dp_op_CI_CI ; -- Begin function bluestein_single_fwd_len1122_dim1_dp_op_CI_CI
	.globl	bluestein_single_fwd_len1122_dim1_dp_op_CI_CI
	.p2align	8
	.type	bluestein_single_fwd_len1122_dim1_dp_op_CI_CI,@function
bluestein_single_fwd_len1122_dim1_dp_op_CI_CI: ; @bluestein_single_fwd_len1122_dim1_dp_op_CI_CI
; %bb.0:
	s_mov_b64 s[66:67], s[2:3]
	v_mul_u32_u24_e32 v1, 0x283, v0
	s_mov_b64 s[64:65], s[0:1]
	v_lshrrev_b32_e32 v1, 16, v1
	s_add_u32 s64, s64, s7
	v_lshl_add_u32 v3, s6, 1, v1
	s_addc_u32 s65, s65, 0
	v_mov_b32_e32 v2, v3
	buffer_store_dword v2, off, s[64:67], 0 ; 4-byte Folded Spill
	s_nop 0
	buffer_store_dword v3, off, s[64:67], 0 offset:4 ; 4-byte Folded Spill
	s_load_dwordx4 s[0:3], s[4:5], 0x28
	v_mov_b32_e32 v4, 0
	s_waitcnt lgkmcnt(0)
	v_cmp_gt_u64_e32 vcc, s[0:1], v[3:4]
	s_and_saveexec_b64 s[0:1], vcc
	s_cbranch_execz .LBB0_23
; %bb.1:
	s_load_dwordx2 s[12:13], s[4:5], 0x0
	s_load_dwordx2 s[14:15], s[4:5], 0x38
	v_mul_lo_u16_e32 v2, 0x66, v1
	v_sub_u16_e32 v255, v0, v2
	v_and_b32_e32 v0, 1, v1
	v_mov_b32_e32 v1, 0x462
	v_cmp_eq_u32_e32 vcc, 1, v0
	v_cndmask_b32_e32 v188, 0, v1, vcc
	s_movk_i32 s0, 0x42
	v_cmp_gt_u16_e64 s[0:1], s0, v255
	v_lshlrev_b32_e32 v254, 4, v188
	s_and_saveexec_b64 s[16:17], s[0:1]
	s_cbranch_execz .LBB0_3
; %bb.2:
	s_load_dwordx2 s[6:7], s[4:5], 0x18
	v_lshlrev_b32_e32 v140, 4, v255
	s_waitcnt lgkmcnt(0)
	v_mov_b32_e32 v22, s13
	s_load_dwordx4 s[8:11], s[6:7], 0x0
	buffer_load_dword v0, off, s[64:67], 0  ; 4-byte Folded Reload
	buffer_load_dword v1, off, s[64:67], 0 offset:4 ; 4-byte Folded Reload
	s_waitcnt lgkmcnt(0)
	v_mad_u64_u32 v[2:3], s[6:7], s8, v255, 0
	s_waitcnt vmcnt(1)
	v_mov_b32_e32 v4, v0
	s_waitcnt vmcnt(0)
	v_mad_u64_u32 v[0:1], s[6:7], s10, v4, 0
	v_mad_u64_u32 v[4:5], s[6:7], s11, v4, v[1:2]
	;; [unrolled: 1-line block ×3, first 2 shown]
	v_mov_b32_e32 v1, v4
	v_lshlrev_b64 v[0:1], 4, v[0:1]
	v_mov_b32_e32 v3, v5
	v_mov_b32_e32 v6, s3
	v_lshlrev_b64 v[2:3], 4, v[2:3]
	v_add_co_u32_e32 v0, vcc, s2, v0
	v_addc_co_u32_e32 v1, vcc, v6, v1, vcc
	v_add_co_u32_e32 v20, vcc, v0, v2
	v_addc_co_u32_e32 v21, vcc, v1, v3, vcc
	global_load_dwordx4 v[0:3], v140, s[12:13]
	global_load_dwordx4 v[4:7], v[20:21], off
	v_add_co_u32_e32 v108, vcc, s12, v140
	s_movk_i32 s2, 0x1000
	s_movk_i32 s3, 0x4000
	v_addc_co_u32_e32 v109, vcc, 0, v22, vcc
	v_add_co_u32_e32 v42, vcc, s2, v108
	v_add_co_u32_e64 v44, s[2:3], s3, v108
	v_addc_co_u32_e32 v43, vcc, 0, v109, vcc
	v_addc_co_u32_e64 v45, vcc, 0, v109, s[2:3]
	s_mul_i32 s2, s9, 0x420
	s_mul_hi_u32 s3, s8, 0x420
	s_mulk_i32 s8, 0x420
	s_add_i32 s2, s3, s2
	global_load_dwordx4 v[8:11], v140, s[12:13] offset:1056
	global_load_dwordx4 v[12:15], v140, s[12:13] offset:2112
	global_load_dwordx4 v[16:19], v140, s[12:13] offset:3168
	global_load_dwordx4 v[22:25], v[42:43], off offset:128
	global_load_dwordx4 v[26:29], v[42:43], off offset:1184
	;; [unrolled: 1-line block ×5, first 2 shown]
	v_mov_b32_e32 v42, s2
	v_add_co_u32_e32 v20, vcc, s8, v20
	v_addc_co_u32_e32 v21, vcc, v21, v42, vcc
	v_mov_b32_e32 v47, s2
	v_add_co_u32_e32 v46, vcc, s8, v20
	v_addc_co_u32_e32 v47, vcc, v21, v47, vcc
	v_mov_b32_e32 v48, s2
	global_load_dwordx4 v[42:45], v[20:21], off
	v_add_co_u32_e32 v20, vcc, s8, v46
	v_addc_co_u32_e32 v21, vcc, v47, v48, vcc
	v_mov_b32_e32 v54, s2
	v_add_co_u32_e32 v57, vcc, s8, v20
	v_addc_co_u32_e32 v58, vcc, v21, v54, vcc
	global_load_dwordx4 v[46:49], v[46:47], off
	v_mov_b32_e32 v59, s2
	global_load_dwordx4 v[50:53], v[20:21], off
	v_add_co_u32_e32 v20, vcc, s8, v57
	global_load_dwordx4 v[54:57], v[57:58], off
	v_addc_co_u32_e32 v21, vcc, v58, v59, vcc
	v_mov_b32_e32 v62, s2
	v_add_co_u32_e32 v65, vcc, s8, v20
	v_addc_co_u32_e32 v66, vcc, v21, v62, vcc
	v_mov_b32_e32 v67, s2
	global_load_dwordx4 v[58:61], v[20:21], off
	v_add_co_u32_e32 v20, vcc, s8, v65
	s_movk_i32 s6, 0x2000
	v_addc_co_u32_e32 v21, vcc, v66, v67, vcc
	v_add_co_u32_e64 v102, s[6:7], s6, v108
	v_mov_b32_e32 v70, s2
	v_add_co_u32_e32 v74, vcc, s8, v20
	v_addc_co_u32_e32 v75, vcc, v21, v70, vcc
	v_addc_co_u32_e64 v103, vcc, 0, v109, s[6:7]
	global_load_dwordx4 v[62:65], v[65:66], off
	v_mov_b32_e32 v76, s2
	v_add_co_u32_e32 v86, vcc, s8, v74
	global_load_dwordx4 v[66:69], v[20:21], off
	v_addc_co_u32_e32 v87, vcc, v75, v76, vcc
	global_load_dwordx4 v[70:73], v[74:75], off
	v_mov_b32_e32 v88, s2
	v_add_co_u32_e32 v90, vcc, s8, v86
	global_load_dwordx4 v[74:77], v[86:87], off
	global_load_dwordx4 v[78:81], v[102:103], off offset:256
	global_load_dwordx4 v[82:85], v[102:103], off offset:1312
	v_addc_co_u32_e32 v91, vcc, v87, v88, vcc
	v_mov_b32_e32 v92, s2
	v_add_co_u32_e32 v104, vcc, s8, v90
	v_addc_co_u32_e32 v105, vcc, v91, v92, vcc
	global_load_dwordx4 v[86:89], v[90:91], off
	s_nop 0
	global_load_dwordx4 v[90:93], v[104:105], off
	global_load_dwordx4 v[94:97], v[102:103], off offset:2368
	global_load_dwordx4 v[98:101], v[102:103], off offset:3424
	v_mov_b32_e32 v102, s2
	v_add_co_u32_e32 v106, vcc, s8, v104
	v_addc_co_u32_e32 v107, vcc, v105, v102, vcc
	s_movk_i32 s3, 0x3000
	v_add_co_u32_e32 v130, vcc, s3, v108
	v_addc_co_u32_e32 v131, vcc, 0, v109, vcc
	v_mov_b32_e32 v108, s2
	v_add_co_u32_e32 v118, vcc, s8, v106
	v_addc_co_u32_e32 v119, vcc, v107, v108, vcc
	v_mov_b32_e32 v120, s2
	v_add_co_u32_e32 v122, vcc, s8, v118
	v_addc_co_u32_e32 v123, vcc, v119, v120, vcc
	global_load_dwordx4 v[102:105], v[106:107], off
	v_mov_b32_e32 v124, s2
	v_add_co_u32_e32 v134, vcc, s8, v122
	global_load_dwordx4 v[106:109], v[118:119], off
	global_load_dwordx4 v[110:113], v[130:131], off offset:384
	global_load_dwordx4 v[114:117], v[130:131], off offset:1440
	v_addc_co_u32_e32 v135, vcc, v123, v124, vcc
	global_load_dwordx4 v[118:121], v[122:123], off
	s_nop 0
	global_load_dwordx4 v[122:125], v[134:135], off
	global_load_dwordx4 v[126:129], v[130:131], off offset:2496
	s_nop 0
	global_load_dwordx4 v[130:133], v[130:131], off offset:3552
	v_mov_b32_e32 v136, s2
	v_add_co_u32_e32 v134, vcc, s8, v134
	v_addc_co_u32_e32 v135, vcc, v135, v136, vcc
	global_load_dwordx4 v[134:137], v[134:135], off
	s_waitcnt vmcnt(32)
	v_mul_f64 v[20:21], v[6:7], v[2:3]
	v_mul_f64 v[138:139], v[4:5], v[2:3]
	v_fma_f64 v[2:3], v[4:5], v[0:1], v[20:21]
	v_fma_f64 v[4:5], v[6:7], v[0:1], -v[138:139]
	v_lshl_add_u32 v6, v255, 4, v254
	s_waitcnt vmcnt(23)
	v_mul_f64 v[0:1], v[44:45], v[10:11]
	s_waitcnt vmcnt(20)
	v_mul_f64 v[20:21], v[54:55], v[24:25]
	ds_write_b128 v6, v[2:5]
	v_mul_f64 v[2:3], v[42:43], v[10:11]
	v_mul_f64 v[4:5], v[48:49], v[14:15]
	;; [unrolled: 1-line block ×6, first 2 shown]
	v_fma_f64 v[0:1], v[42:43], v[8:9], v[0:1]
	v_add_u32_e32 v42, v254, v140
	v_fma_f64 v[2:3], v[44:45], v[8:9], -v[2:3]
	v_fma_f64 v[4:5], v[46:47], v[12:13], v[4:5]
	v_fma_f64 v[6:7], v[48:49], v[12:13], -v[6:7]
	v_fma_f64 v[8:9], v[50:51], v[16:17], v[10:11]
	;; [unrolled: 2-line block ×3, first 2 shown]
	s_waitcnt vmcnt(19)
	v_mul_f64 v[16:17], v[60:61], v[28:29]
	v_mul_f64 v[18:19], v[58:59], v[28:29]
	v_fma_f64 v[14:15], v[56:57], v[22:23], -v[20:21]
	s_waitcnt vmcnt(18)
	v_mul_f64 v[20:21], v[64:65], v[32:33]
	v_mul_f64 v[22:23], v[62:63], v[32:33]
	s_waitcnt vmcnt(17)
	v_mul_f64 v[24:25], v[68:69], v[36:37]
	v_mul_f64 v[28:29], v[66:67], v[36:37]
	;; [unrolled: 3-line block ×3, first 2 shown]
	v_fma_f64 v[16:17], v[58:59], v[26:27], v[16:17]
	v_fma_f64 v[18:19], v[60:61], v[26:27], -v[18:19]
	v_fma_f64 v[20:21], v[62:63], v[30:31], v[20:21]
	v_fma_f64 v[22:23], v[64:65], v[30:31], -v[22:23]
	;; [unrolled: 2-line block ×4, first 2 shown]
	ds_write_b128 v42, v[0:3] offset:1056
	ds_write_b128 v42, v[4:7] offset:2112
	;; [unrolled: 1-line block ×8, first 2 shown]
	s_waitcnt vmcnt(13)
	v_mul_f64 v[0:1], v[76:77], v[84:85]
	v_mul_f64 v[2:3], v[74:75], v[84:85]
	s_waitcnt vmcnt(10)
	v_mul_f64 v[4:5], v[88:89], v[96:97]
	v_mul_f64 v[6:7], v[86:87], v[96:97]
	;; [unrolled: 3-line block ×3, first 2 shown]
	v_fma_f64 v[0:1], v[74:75], v[82:83], v[0:1]
	v_fma_f64 v[2:3], v[76:77], v[82:83], -v[2:3]
	v_fma_f64 v[4:5], v[86:87], v[94:95], v[4:5]
	v_fma_f64 v[6:7], v[88:89], v[94:95], -v[6:7]
	;; [unrolled: 2-line block ×3, first 2 shown]
	s_waitcnt vmcnt(6)
	v_mul_f64 v[12:13], v[104:105], v[112:113]
	v_mul_f64 v[14:15], v[102:103], v[112:113]
	s_waitcnt vmcnt(5)
	v_mul_f64 v[16:17], v[108:109], v[116:117]
	v_mul_f64 v[18:19], v[106:107], v[116:117]
	;; [unrolled: 3-line block ×4, first 2 shown]
	v_fma_f64 v[12:13], v[102:103], v[110:111], v[12:13]
	v_fma_f64 v[14:15], v[104:105], v[110:111], -v[14:15]
	v_fma_f64 v[16:17], v[106:107], v[114:115], v[16:17]
	s_waitcnt vmcnt(0)
	v_mul_f64 v[28:29], v[136:137], v[40:41]
	v_mul_f64 v[30:31], v[134:135], v[40:41]
	v_fma_f64 v[18:19], v[108:109], v[114:115], -v[18:19]
	v_fma_f64 v[20:21], v[118:119], v[126:127], v[20:21]
	v_fma_f64 v[22:23], v[120:121], v[126:127], -v[22:23]
	v_fma_f64 v[24:25], v[122:123], v[130:131], v[24:25]
	;; [unrolled: 2-line block ×3, first 2 shown]
	v_fma_f64 v[30:31], v[136:137], v[38:39], -v[30:31]
	ds_write_b128 v42, v[0:3] offset:9504
	ds_write_b128 v42, v[4:7] offset:10560
	;; [unrolled: 1-line block ×8, first 2 shown]
.LBB0_3:
	s_or_b64 exec, exec, s[16:17]
	s_load_dwordx2 s[2:3], s[4:5], 0x20
	s_load_dwordx2 s[8:9], s[4:5], 0x8
	s_waitcnt vmcnt(0) lgkmcnt(0)
	s_barrier
	s_waitcnt lgkmcnt(0)
                                        ; implicit-def: $vgpr20_vgpr21
                                        ; implicit-def: $vgpr80_vgpr81
                                        ; implicit-def: $vgpr84_vgpr85
                                        ; implicit-def: $vgpr76_vgpr77
                                        ; implicit-def: $vgpr72_vgpr73
                                        ; implicit-def: $vgpr68_vgpr69
                                        ; implicit-def: $vgpr64_vgpr65
                                        ; implicit-def: $vgpr24_vgpr25
                                        ; implicit-def: $vgpr28_vgpr29
                                        ; implicit-def: $vgpr32_vgpr33
                                        ; implicit-def: $vgpr36_vgpr37
                                        ; implicit-def: $vgpr40_vgpr41
                                        ; implicit-def: $vgpr44_vgpr45
                                        ; implicit-def: $vgpr48_vgpr49
                                        ; implicit-def: $vgpr52_vgpr53
                                        ; implicit-def: $vgpr56_vgpr57
                                        ; implicit-def: $vgpr60_vgpr61
	s_and_saveexec_b64 s[4:5], s[0:1]
	s_cbranch_execz .LBB0_5
; %bb.4:
	v_lshlrev_b32_e32 v0, 4, v255
	v_lshl_add_u32 v0, v188, 4, v0
	ds_read_b128 v[20:23], v0
	ds_read_b128 v[80:83], v0 offset:1056
	ds_read_b128 v[84:87], v0 offset:2112
	;; [unrolled: 1-line block ×16, first 2 shown]
.LBB0_5:
	s_or_b64 exec, exec, s[4:5]
	s_waitcnt lgkmcnt(1)
	v_add_f64 v[229:230], v[86:87], -v[58:59]
	s_mov_b32 s42, 0x6c9a05f6
	s_mov_b32 s43, 0xbfe9895b
	s_waitcnt lgkmcnt(0)
	v_add_f64 v[221:222], v[82:83], -v[62:63]
	v_add_f64 v[209:210], v[80:81], -v[60:61]
	;; [unrolled: 1-line block ×3, first 2 shown]
	s_mov_b32 s26, 0x5d8e7cdc
	s_mov_b32 s34, 0x2a9d6da3
	v_mul_f64 v[88:89], v[229:230], s[42:43]
	s_mov_b32 s36, 0x7c9e640b
	s_mov_b32 s27, 0xbfd71e95
	;; [unrolled: 1-line block ×4, first 2 shown]
	v_add_f64 v[94:95], v[80:81], v[60:61]
	v_add_f64 v[96:97], v[82:83], v[62:63]
	v_mul_f64 v[108:109], v[209:210], s[26:27]
	buffer_store_dword v88, off, s[64:67], 0 offset:24 ; 4-byte Folded Spill
	s_nop 0
	buffer_store_dword v89, off, s[64:67], 0 offset:28 ; 4-byte Folded Spill
	v_mul_f64 v[114:115], v[221:222], s[34:35]
	v_mul_f64 v[116:117], v[209:210], s[34:35]
	;; [unrolled: 1-line block ×4, first 2 shown]
	s_mov_b32 s4, 0x370991
	s_mov_b32 s16, 0x75d4884
	;; [unrolled: 1-line block ×8, first 2 shown]
	v_fma_f64 v[2:3], v[96:97], s[4:5], -v[108:109]
	v_fma_f64 v[4:5], v[94:95], s[16:17], v[114:115]
	v_fma_f64 v[6:7], v[96:97], s[16:17], -v[116:117]
	v_fma_f64 v[8:9], v[94:95], s[6:7], v[231:232]
	v_add_f64 v[120:121], v[84:85], v[56:57]
	v_add_f64 v[122:123], v[86:87], v[58:59]
	v_mul_f64 v[245:246], v[227:228], s[34:35]
	v_mul_f64 v[247:248], v[229:230], s[30:31]
	;; [unrolled: 1-line block ×3, first 2 shown]
	buffer_store_dword v90, off, s[64:67], 0 offset:72 ; 4-byte Folded Spill
	s_nop 0
	buffer_store_dword v91, off, s[64:67], 0 offset:76 ; 4-byte Folded Spill
	s_mov_b32 s10, 0x3259b75e
	s_mov_b32 s20, 0x6ed5f1bb
	;; [unrolled: 1-line block ×4, first 2 shown]
	v_add_f64 v[2:3], v[22:23], v[2:3]
	v_add_f64 v[4:5], v[20:21], v[4:5]
	;; [unrolled: 1-line block ×4, first 2 shown]
	v_fma_f64 v[14:15], v[122:123], s[16:17], -v[245:246]
	v_fma_f64 v[16:17], v[120:121], s[10:11], v[247:248]
	v_fma_f64 v[18:19], v[122:123], s[10:11], -v[251:252]
	v_add_f64 v[98:99], v[78:79], -v[54:55]
	v_add_f64 v[233:234], v[76:77], -v[52:53]
	s_mov_b32 s40, 0xacd6c6b4
	s_mov_b32 s41, 0xbfc7851a
	;; [unrolled: 1-line block ×4, first 2 shown]
	v_add_f64 v[2:3], v[14:15], v[2:3]
	v_add_f64 v[4:5], v[16:17], v[4:5]
	;; [unrolled: 1-line block ×3, first 2 shown]
	v_mul_f64 v[14:15], v[233:234], s[36:37]
	v_mul_f64 v[16:17], v[98:99], s[42:43]
	v_mul_f64 v[18:19], v[233:234], s[42:43]
	v_mul_f64 v[100:101], v[233:234], s[50:51]
	buffer_store_dword v14, off, s[64:67], 0 offset:40 ; 4-byte Folded Spill
	s_nop 0
	buffer_store_dword v15, off, s[64:67], 0 offset:44 ; 4-byte Folded Spill
	buffer_store_dword v16, off, s[64:67], 0 offset:56 ; 4-byte Folded Spill
	s_nop 0
	buffer_store_dword v17, off, s[64:67], 0 offset:60 ; 4-byte Folded Spill
	;; [unrolled: 3-line block ×3, first 2 shown]
	v_mul_f64 v[249:250], v[209:210], s[36:37]
	v_mul_f64 v[106:107], v[221:222], s[26:27]
	;; [unrolled: 1-line block ×3, first 2 shown]
	v_add_f64 v[138:139], v[76:77], v[52:53]
	v_add_f64 v[142:143], v[78:79], v[54:55]
	v_add_f64 v[112:113], v[74:75], -v[50:51]
	s_mov_b32 s24, 0x7faef3
	s_mov_b32 s25, 0xbfef7484
	v_fma_f64 v[10:11], v[96:97], s[6:7], -v[249:250]
	v_fma_f64 v[0:1], v[94:95], s[4:5], v[106:107]
	v_fma_f64 v[12:13], v[120:121], s[16:17], v[243:244]
	v_add_f64 v[104:105], v[72:73], -v[48:49]
	v_add_f64 v[152:153], v[72:73], v[48:49]
	s_mov_b32 s38, 0x923c349f
	s_mov_b32 s39, 0xbfeec746
	;; [unrolled: 1-line block ×3, first 2 shown]
	v_add_f64 v[10:11], v[22:23], v[10:11]
	v_add_f64 v[0:1], v[20:21], v[0:1]
	s_mov_b32 s44, s38
	v_mul_f64 v[102:103], v[104:105], s[30:31]
	v_add_f64 v[154:155], v[74:75], v[50:51]
	s_mov_b32 s18, 0xc61f0d01
	s_mov_b32 s19, 0xbfd183b1
	v_add_f64 v[156:157], v[70:71], -v[46:47]
	v_add_f64 v[124:125], v[68:69], -v[44:45]
	v_fma_f64 v[88:89], v[120:121], s[20:21], v[88:89]
	v_add_f64 v[0:1], v[12:13], v[0:1]
	s_mov_b32 s48, 0x4363dd80
	s_mov_b32 s49, 0x3fe0d888
	v_add_f64 v[168:169], v[68:69], v[44:45]
	v_add_f64 v[172:173], v[70:71], v[46:47]
	s_mov_b32 s22, 0x910ea3b9
	s_mov_b32 s23, 0xbfeb34fa
	v_add_f64 v[8:9], v[88:89], v[8:9]
	v_mul_f64 v[88:89], v[98:99], s[50:51]
	s_mov_b32 s47, 0x3fe58eea
	s_mov_b32 s46, s34
	v_add_f64 v[162:163], v[66:67], -v[42:43]
	v_add_f64 v[158:159], v[64:65], -v[40:41]
	v_add_f64 v[189:190], v[64:65], v[40:41]
	v_add_f64 v[191:192], v[66:67], v[42:43]
	buffer_store_dword v88, off, s[64:67], 0 offset:144 ; 4-byte Folded Spill
	s_nop 0
	buffer_store_dword v89, off, s[64:67], 0 offset:148 ; 4-byte Folded Spill
	buffer_store_dword v100, off, s[64:67], 0 offset:224 ; 4-byte Folded Spill
	s_nop 0
	buffer_store_dword v101, off, s[64:67], 0 offset:228 ; 4-byte Folded Spill
	v_add_f64 v[164:165], v[26:27], -v[38:39]
	s_mov_b32 s53, 0xbfe0d888
	v_mul_f64 v[110:111], v[158:159], s[44:45]
	v_fma_f64 v[90:91], v[122:123], s[20:21], -v[90:91]
	s_mov_b32 s52, s48
	v_add_f64 v[160:161], v[24:25], -v[36:37]
	v_add_f64 v[201:202], v[24:25], v[36:37]
	s_mov_b32 s57, 0x3feca52d
	s_mov_b32 s56, s36
	v_add_f64 v[203:204], v[26:27], v[38:39]
	v_add_f64 v[170:171], v[30:31], -v[34:35]
	v_add_f64 v[10:11], v[90:91], v[10:11]
	v_mul_f64 v[90:91], v[98:99], s[36:37]
	v_add_f64 v[166:167], v[28:29], -v[32:33]
	s_mov_b32 s55, 0x3fd71e95
	s_mov_b32 s54, s26
	v_add_f64 v[215:216], v[28:29], v[32:33]
	v_mul_f64 v[92:93], v[221:222], s[30:31]
	v_add_f64 v[217:218], v[30:31], v[34:35]
	s_mov_b32 s59, 0x3fe9895b
	v_fma_f64 v[12:13], v[138:139], s[6:7], v[90:91]
	s_mov_b32 s58, s42
	v_mul_f64 v[132:133], v[209:210], s[38:39]
	v_mul_f64 v[134:135], v[227:228], s[48:49]
	v_mul_f64 v[140:141], v[233:234], s[46:47]
	v_mul_f64 v[136:137], v[104:105], s[36:37]
	v_mul_f64 v[118:119], v[156:157], s[40:41]
	v_mul_f64 v[144:145], v[124:125], s[40:41]
	v_add_f64 v[0:1], v[12:13], v[0:1]
	s_mov_b32 s61, 0x3fefdd0d
	s_mov_b32 s60, s30
	v_mul_f64 v[126:127], v[162:163], s[60:61]
	v_fma_f64 v[12:13], v[142:143], s[6:7], -v[14:15]
	v_fma_f64 v[14:15], v[138:139], s[20:21], v[16:17]
	v_fma_f64 v[16:17], v[142:143], s[20:21], -v[18:19]
	v_mul_f64 v[146:147], v[158:159], s[60:61]
	v_mul_f64 v[128:129], v[164:165], s[26:27]
	;; [unrolled: 1-line block ×5, first 2 shown]
	v_add_f64 v[2:3], v[12:13], v[2:3]
	v_add_f64 v[4:5], v[14:15], v[4:5]
	;; [unrolled: 1-line block ×3, first 2 shown]
	v_mul_f64 v[16:17], v[112:113], s[40:41]
	v_mul_f64 v[174:175], v[221:222], s[42:43]
	;; [unrolled: 1-line block ×17, first 2 shown]
	v_fma_f64 v[18:19], v[138:139], s[24:25], v[88:89]
	v_fma_f64 v[88:89], v[142:143], s[24:25], -v[100:101]
	v_mul_f64 v[100:101], v[112:113], s[30:31]
	buffer_store_dword v100, off, s[64:67], 0 offset:80 ; 4-byte Folded Spill
	s_nop 0
	buffer_store_dword v101, off, s[64:67], 0 offset:84 ; 4-byte Folded Spill
	v_add_f64 v[8:9], v[18:19], v[8:9]
	v_add_f64 v[10:11], v[88:89], v[10:11]
	v_mul_f64 v[18:19], v[104:105], s[40:41]
	v_mul_f64 v[88:89], v[112:113], s[44:45]
	buffer_store_dword v102, off, s[64:67], 0 offset:96 ; 4-byte Folded Spill
	s_nop 0
	buffer_store_dword v103, off, s[64:67], 0 offset:100 ; 4-byte Folded Spill
	buffer_store_dword v16, off, s[64:67], 0 offset:112 ; 4-byte Folded Spill
	s_nop 0
	buffer_store_dword v17, off, s[64:67], 0 offset:116 ; 4-byte Folded Spill
	;; [unrolled: 3-line block ×4, first 2 shown]
	v_fma_f64 v[12:13], v[152:153], s[10:11], v[100:101]
	v_mul_f64 v[100:101], v[104:105], s[44:45]
	buffer_store_dword v100, off, s[64:67], 0 offset:312 ; 4-byte Folded Spill
	s_nop 0
	buffer_store_dword v101, off, s[64:67], 0 offset:316 ; 4-byte Folded Spill
	v_fma_f64 v[14:15], v[154:155], s[10:11], -v[102:103]
	v_fma_f64 v[16:17], v[152:153], s[24:25], v[16:17]
	v_add_f64 v[0:1], v[12:13], v[0:1]
	v_fma_f64 v[12:13], v[154:155], s[24:25], -v[18:19]
	v_mul_f64 v[102:103], v[162:163], s[26:27]
	v_add_f64 v[2:3], v[14:15], v[2:3]
	v_fma_f64 v[14:15], v[152:153], s[18:19], v[88:89]
	v_add_f64 v[4:5], v[16:17], v[4:5]
	v_mul_f64 v[16:17], v[156:157], s[38:39]
	v_mul_f64 v[88:89], v[124:125], s[38:39]
	buffer_store_dword v16, off, s[64:67], 0 offset:160 ; 4-byte Folded Spill
	s_nop 0
	buffer_store_dword v17, off, s[64:67], 0 offset:164 ; 4-byte Folded Spill
	buffer_store_dword v88, off, s[64:67], 0 offset:176 ; 4-byte Folded Spill
	s_nop 0
	buffer_store_dword v89, off, s[64:67], 0 offset:180 ; 4-byte Folded Spill
	v_add_f64 v[6:7], v[12:13], v[6:7]
	v_add_f64 v[8:9], v[14:15], v[8:9]
	v_fma_f64 v[18:19], v[154:155], s[18:19], -v[100:101]
	v_mul_f64 v[100:101], v[156:157], s[46:47]
	v_add_f64 v[10:11], v[18:19], v[10:11]
	v_mul_f64 v[18:19], v[156:157], s[48:49]
	buffer_store_dword v18, off, s[64:67], 0 offset:192 ; 4-byte Folded Spill
	s_nop 0
	buffer_store_dword v19, off, s[64:67], 0 offset:196 ; 4-byte Folded Spill
	v_fma_f64 v[12:13], v[168:169], s[18:19], v[16:17]
	v_fma_f64 v[14:15], v[172:173], s[18:19], -v[88:89]
	v_mul_f64 v[88:89], v[124:125], s[48:49]
	buffer_store_dword v88, off, s[64:67], 0 offset:304 ; 4-byte Folded Spill
	s_nop 0
	buffer_store_dword v89, off, s[64:67], 0 offset:308 ; 4-byte Folded Spill
	buffer_store_dword v100, off, s[64:67], 0 offset:320 ; 4-byte Folded Spill
	s_nop 0
	buffer_store_dword v101, off, s[64:67], 0 offset:324 ; 4-byte Folded Spill
	v_add_f64 v[0:1], v[12:13], v[0:1]
	v_add_f64 v[2:3], v[14:15], v[2:3]
	v_fma_f64 v[16:17], v[168:169], s[22:23], v[18:19]
	v_mul_f64 v[18:19], v[124:125], s[46:47]
	buffer_store_dword v18, off, s[64:67], 0 offset:368 ; 4-byte Folded Spill
	s_nop 0
	buffer_store_dword v19, off, s[64:67], 0 offset:372 ; 4-byte Folded Spill
	v_add_f64 v[4:5], v[16:17], v[4:5]
	v_fma_f64 v[12:13], v[172:173], s[22:23], -v[88:89]
	v_fma_f64 v[14:15], v[168:169], s[16:17], v[100:101]
	v_mul_f64 v[88:89], v[158:159], s[42:43]
	v_mul_f64 v[100:101], v[162:163], s[44:45]
	v_add_f64 v[6:7], v[12:13], v[6:7]
	v_add_f64 v[8:9], v[14:15], v[8:9]
	v_fma_f64 v[16:17], v[172:173], s[16:17], -v[18:19]
	v_mul_f64 v[18:19], v[162:163], s[42:43]
	buffer_store_dword v18, off, s[64:67], 0 offset:256 ; 4-byte Folded Spill
	s_nop 0
	buffer_store_dword v19, off, s[64:67], 0 offset:260 ; 4-byte Folded Spill
	buffer_store_dword v88, off, s[64:67], 0 offset:272 ; 4-byte Folded Spill
	s_nop 0
	buffer_store_dword v89, off, s[64:67], 0 offset:276 ; 4-byte Folded Spill
	;; [unrolled: 3-line block ×4, first 2 shown]
	v_add_f64 v[10:11], v[16:17], v[10:11]
	buffer_store_dword v102, off, s[64:67], 0 offset:352 ; 4-byte Folded Spill
	s_nop 0
	buffer_store_dword v103, off, s[64:67], 0 offset:356 ; 4-byte Folded Spill
	v_fma_f64 v[12:13], v[189:190], s[20:21], v[18:19]
	v_fma_f64 v[14:15], v[191:192], s[20:21], -v[88:89]
	v_fma_f64 v[16:17], v[189:190], s[18:19], v[100:101]
	v_fma_f64 v[18:19], v[191:192], s[18:19], -v[110:111]
	v_mul_f64 v[110:111], v[158:159], s[26:27]
	v_mul_f64 v[100:101], v[164:165], s[52:53]
	buffer_store_dword v110, off, s[64:67], 0 offset:416 ; 4-byte Folded Spill
	s_nop 0
	buffer_store_dword v111, off, s[64:67], 0 offset:420 ; 4-byte Folded Spill
	buffer_store_dword v100, off, s[64:67], 0 offset:328 ; 4-byte Folded Spill
	s_nop 0
	buffer_store_dword v101, off, s[64:67], 0 offset:332 ; 4-byte Folded Spill
	v_fma_f64 v[88:89], v[189:190], s[4:5], v[102:103]
	v_mul_f64 v[102:103], v[160:161], s[52:53]
	v_add_f64 v[2:3], v[14:15], v[2:3]
	v_add_f64 v[6:7], v[18:19], v[6:7]
	buffer_store_dword v102, off, s[64:67], 0 offset:336 ; 4-byte Folded Spill
	s_nop 0
	buffer_store_dword v103, off, s[64:67], 0 offset:340 ; 4-byte Folded Spill
	v_add_f64 v[8:9], v[88:89], v[8:9]
	v_mul_f64 v[18:19], v[164:165], s[56:57]
	v_mul_f64 v[88:89], v[164:165], s[30:31]
	buffer_store_dword v18, off, s[64:67], 0 offset:344 ; 4-byte Folded Spill
	s_nop 0
	buffer_store_dword v19, off, s[64:67], 0 offset:348 ; 4-byte Folded Spill
	v_add_f64 v[0:1], v[12:13], v[0:1]
	v_add_f64 v[4:5], v[16:17], v[4:5]
	v_fma_f64 v[12:13], v[191:192], s[4:5], -v[110:111]
	v_fma_f64 v[14:15], v[201:202], s[22:23], v[100:101]
	v_mul_f64 v[100:101], v[160:161], s[56:57]
	buffer_store_dword v100, off, s[64:67], 0 offset:400 ; 4-byte Folded Spill
	s_nop 0
	buffer_store_dword v101, off, s[64:67], 0 offset:404 ; 4-byte Folded Spill
	buffer_store_dword v88, off, s[64:67], 0 offset:392 ; 4-byte Folded Spill
	s_nop 0
	buffer_store_dword v89, off, s[64:67], 0 offset:396 ; 4-byte Folded Spill
	v_fma_f64 v[16:17], v[203:204], s[22:23], -v[102:103]
	v_add_f64 v[10:11], v[12:13], v[10:11]
	v_add_f64 v[0:1], v[14:15], v[0:1]
	v_mul_f64 v[110:111], v[160:161], s[30:31]
	buffer_store_dword v110, off, s[64:67], 0 offset:448 ; 4-byte Folded Spill
	s_nop 0
	buffer_store_dword v111, off, s[64:67], 0 offset:452 ; 4-byte Folded Spill
	v_add_f64 v[2:3], v[16:17], v[2:3]
	v_fma_f64 v[12:13], v[201:202], s[6:7], v[18:19]
	v_mul_f64 v[18:19], v[170:171], s[40:41]
	buffer_store_dword v18, off, s[64:67], 0 offset:376 ; 4-byte Folded Spill
	s_nop 0
	buffer_store_dword v19, off, s[64:67], 0 offset:380 ; 4-byte Folded Spill
	v_mul_f64 v[102:103], v[166:167], s[54:55]
	v_add_f64 v[4:5], v[12:13], v[4:5]
	v_fma_f64 v[14:15], v[203:204], s[6:7], -v[100:101]
	v_fma_f64 v[16:17], v[201:202], s[10:11], v[88:89]
	v_mul_f64 v[88:89], v[166:167], s[40:41]
	v_mul_f64 v[100:101], v[170:171], s[54:55]
	buffer_store_dword v88, off, s[64:67], 0 offset:384 ; 4-byte Folded Spill
	s_nop 0
	buffer_store_dword v89, off, s[64:67], 0 offset:388 ; 4-byte Folded Spill
	buffer_store_dword v100, off, s[64:67], 0 offset:408 ; 4-byte Folded Spill
	s_nop 0
	buffer_store_dword v101, off, s[64:67], 0 offset:412 ; 4-byte Folded Spill
	v_add_f64 v[6:7], v[14:15], v[6:7]
	buffer_store_dword v102, off, s[64:67], 0 offset:424 ; 4-byte Folded Spill
	s_nop 0
	buffer_store_dword v103, off, s[64:67], 0 offset:428 ; 4-byte Folded Spill
	buffer_store_dword v92, off, s[64:67], 0 offset:8 ; 4-byte Folded Spill
	s_nop 0
	buffer_store_dword v93, off, s[64:67], 0 offset:12 ; 4-byte Folded Spill
	v_fma_f64 v[12:13], v[203:204], s[10:11], -v[110:111]
	v_add_f64 v[8:9], v[16:17], v[8:9]
	v_mul_f64 v[110:111], v[229:230], s[48:49]
	v_add_f64 v[10:11], v[12:13], v[10:11]
	v_fma_f64 v[14:15], v[215:216], s[24:25], v[18:19]
	v_add_f64 v[14:15], v[14:15], v[0:1]
	v_fma_f64 v[16:17], v[217:218], s[24:25], -v[88:89]
	v_fma_f64 v[18:19], v[215:216], s[4:5], v[100:101]
	v_mul_f64 v[100:101], v[170:171], s[52:53]
	buffer_store_dword v100, off, s[64:67], 0 offset:432 ; 4-byte Folded Spill
	s_nop 0
	buffer_store_dword v101, off, s[64:67], 0 offset:436 ; 4-byte Folded Spill
	v_fma_f64 v[88:89], v[217:218], s[4:5], -v[102:103]
	v_mul_f64 v[102:103], v[166:167], s[52:53]
	v_fma_f64 v[12:13], v[94:95], s[10:11], v[92:93]
	v_add_f64 v[223:224], v[18:19], v[4:5]
	buffer_store_dword v102, off, s[64:67], 0 offset:440 ; 4-byte Folded Spill
	s_nop 0
	buffer_store_dword v103, off, s[64:67], 0 offset:444 ; 4-byte Folded Spill
	v_add_f64 v[225:226], v[88:89], v[6:7]
	v_mul_f64 v[6:7], v[229:230], s[40:41]
	v_add_f64 v[4:5], v[20:21], v[12:13]
	v_add_f64 v[16:17], v[16:17], v[2:3]
	v_mul_f64 v[88:89], v[209:210], s[30:31]
	v_mul_f64 v[12:13], v[112:113], s[54:55]
	;; [unrolled: 1-line block ×4, first 2 shown]
	v_fma_f64 v[0:1], v[215:216], s[22:23], v[100:101]
	v_add_f64 v[235:236], v[0:1], v[8:9]
	v_fma_f64 v[0:1], v[120:121], s[24:25], v[6:7]
	v_fma_f64 v[2:3], v[217:218], s[22:23], -v[102:103]
	v_add_f64 v[0:1], v[0:1], v[4:5]
	v_mul_f64 v[4:5], v[227:228], s[40:41]
	buffer_store_dword v4, off, s[64:67], 0 offset:496 ; 4-byte Folded Spill
	s_nop 0
	buffer_store_dword v5, off, s[64:67], 0 offset:500 ; 4-byte Folded Spill
	v_add_f64 v[237:238], v[2:3], v[10:11]
	v_fma_f64 v[2:3], v[96:97], s[10:11], -v[88:89]
	v_add_f64 v[2:3], v[22:23], v[2:3]
	v_fma_f64 v[4:5], v[122:123], s[24:25], -v[4:5]
	v_add_f64 v[2:3], v[4:5], v[2:3]
	v_mul_f64 v[4:5], v[98:99], s[44:45]
	buffer_store_dword v4, off, s[64:67], 0 offset:464 ; 4-byte Folded Spill
	s_nop 0
	buffer_store_dword v5, off, s[64:67], 0 offset:468 ; 4-byte Folded Spill
	v_fma_f64 v[4:5], v[138:139], s[18:19], v[4:5]
	v_add_f64 v[0:1], v[4:5], v[0:1]
	v_mul_f64 v[4:5], v[233:234], s[44:45]
	buffer_store_dword v4, off, s[64:67], 0 offset:512 ; 4-byte Folded Spill
	s_nop 0
	buffer_store_dword v5, off, s[64:67], 0 offset:516 ; 4-byte Folded Spill
	v_fma_f64 v[4:5], v[142:143], s[18:19], -v[4:5]
	v_add_f64 v[2:3], v[4:5], v[2:3]
	v_fma_f64 v[4:5], v[152:153], s[4:5], v[12:13]
	v_add_f64 v[0:1], v[4:5], v[0:1]
	v_mul_f64 v[4:5], v[104:105], s[54:55]
	buffer_store_dword v4, off, s[64:67], 0 offset:504 ; 4-byte Folded Spill
	s_nop 0
	buffer_store_dword v5, off, s[64:67], 0 offset:508 ; 4-byte Folded Spill
	v_fma_f64 v[4:5], v[154:155], s[4:5], -v[4:5]
	v_add_f64 v[2:3], v[4:5], v[2:3]
	v_mul_f64 v[4:5], v[156:157], s[36:37]
	buffer_store_dword v4, off, s[64:67], 0 offset:480 ; 4-byte Folded Spill
	s_nop 0
	buffer_store_dword v5, off, s[64:67], 0 offset:484 ; 4-byte Folded Spill
	v_fma_f64 v[4:5], v[168:169], s[6:7], v[4:5]
	v_add_f64 v[0:1], v[4:5], v[0:1]
	v_mul_f64 v[4:5], v[124:125], s[36:37]
	buffer_store_dword v4, off, s[64:67], 0 offset:520 ; 4-byte Folded Spill
	s_nop 0
	buffer_store_dword v5, off, s[64:67], 0 offset:524 ; 4-byte Folded Spill
	v_fma_f64 v[4:5], v[172:173], s[6:7], -v[4:5]
	v_add_f64 v[2:3], v[4:5], v[2:3]
	v_mul_f64 v[4:5], v[162:163], s[52:53]
	buffer_store_dword v4, off, s[64:67], 0 offset:488 ; 4-byte Folded Spill
	s_nop 0
	buffer_store_dword v5, off, s[64:67], 0 offset:492 ; 4-byte Folded Spill
	;; [unrolled: 12-line block ×4, first 2 shown]
	v_fma_f64 v[4:5], v[215:216], s[16:17], v[4:5]
	v_add_f64 v[8:9], v[4:5], v[0:1]
	v_mul_f64 v[0:1], v[166:167], s[46:47]
	buffer_store_dword v0, off, s[64:67], 0 offset:544 ; 4-byte Folded Spill
	s_nop 0
	buffer_store_dword v1, off, s[64:67], 0 offset:548 ; 4-byte Folded Spill
	v_fma_f64 v[4:5], v[122:123], s[22:23], -v[134:135]
	v_fma_f64 v[0:1], v[217:218], s[16:17], -v[0:1]
	v_add_f64 v[10:11], v[0:1], v[2:3]
	v_mul_f64 v[0:1], v[221:222], s[38:39]
	buffer_store_dword v0, off, s[64:67], 0 offset:552 ; 4-byte Folded Spill
	s_nop 0
	buffer_store_dword v1, off, s[64:67], 0 offset:556 ; 4-byte Folded Spill
	v_fma_f64 v[2:3], v[120:121], s[22:23], v[110:111]
	s_waitcnt vmcnt(0)
	s_barrier
	v_fma_f64 v[0:1], v[94:95], s[18:19], v[0:1]
	v_add_f64 v[0:1], v[20:21], v[0:1]
	v_add_f64 v[0:1], v[2:3], v[0:1]
	v_fma_f64 v[2:3], v[96:97], s[18:19], -v[132:133]
	v_add_f64 v[2:3], v[22:23], v[2:3]
	v_add_f64 v[2:3], v[4:5], v[2:3]
	v_fma_f64 v[4:5], v[138:139], s[16:17], v[92:93]
	v_add_f64 v[0:1], v[4:5], v[0:1]
	v_fma_f64 v[4:5], v[142:143], s[16:17], -v[140:141]
	v_add_f64 v[2:3], v[4:5], v[2:3]
	v_fma_f64 v[4:5], v[152:153], s[6:7], v[18:19]
	v_add_f64 v[0:1], v[4:5], v[0:1]
	v_fma_f64 v[4:5], v[154:155], s[6:7], -v[136:137]
	v_add_f64 v[2:3], v[4:5], v[2:3]
	v_fma_f64 v[4:5], v[168:169], s[24:25], v[118:119]
	v_add_f64 v[0:1], v[4:5], v[0:1]
	v_fma_f64 v[4:5], v[172:173], s[24:25], -v[144:145]
	v_add_f64 v[2:3], v[4:5], v[2:3]
	v_fma_f64 v[4:5], v[189:190], s[10:11], v[126:127]
	v_add_f64 v[0:1], v[4:5], v[0:1]
	v_fma_f64 v[4:5], v[191:192], s[10:11], -v[146:147]
	v_add_f64 v[2:3], v[4:5], v[2:3]
	v_fma_f64 v[4:5], v[201:202], s[4:5], v[128:129]
	v_add_f64 v[0:1], v[4:5], v[0:1]
	v_fma_f64 v[4:5], v[203:204], s[4:5], -v[148:149]
	v_add_f64 v[2:3], v[4:5], v[2:3]
	v_fma_f64 v[4:5], v[215:216], s[20:21], v[130:131]
	v_add_f64 v[239:240], v[4:5], v[0:1]
	v_fma_f64 v[0:1], v[217:218], s[20:21], -v[150:151]
	v_fma_f64 v[4:5], v[122:123], s[18:19], -v[197:198]
	v_add_f64 v[241:242], v[0:1], v[2:3]
	v_fma_f64 v[0:1], v[94:95], s[20:21], v[174:175]
	v_fma_f64 v[2:3], v[120:121], s[18:19], v[176:177]
	v_add_f64 v[0:1], v[20:21], v[0:1]
	v_add_f64 v[0:1], v[2:3], v[0:1]
	v_fma_f64 v[2:3], v[96:97], s[20:21], -v[195:196]
	v_add_f64 v[2:3], v[22:23], v[2:3]
	v_add_f64 v[2:3], v[4:5], v[2:3]
	v_fma_f64 v[4:5], v[138:139], s[4:5], v[180:181]
	v_add_f64 v[0:1], v[4:5], v[0:1]
	v_fma_f64 v[4:5], v[142:143], s[4:5], -v[205:206]
	v_add_f64 v[2:3], v[4:5], v[2:3]
	v_fma_f64 v[4:5], v[152:153], s[22:23], v[178:179]
	v_add_f64 v[0:1], v[4:5], v[0:1]
	v_fma_f64 v[4:5], v[154:155], s[22:23], -v[199:200]
	;; [unrolled: 4-line block ×6, first 2 shown]
	v_add_f64 v[102:103], v[0:1], v[2:3]
	s_and_saveexec_b64 s[28:29], s[0:1]
	s_cbranch_execz .LBB0_7
; %bb.6:
	v_add_f64 v[2:3], v[20:21], v[80:81]
	v_mul_f64 v[4:5], v[96:97], s[24:25]
	buffer_store_dword v6, off, s[64:67], 0 offset:640 ; 4-byte Folded Spill
	s_nop 0
	buffer_store_dword v7, off, s[64:67], 0 offset:644 ; 4-byte Folded Spill
	v_add_f64 v[0:1], v[22:23], v[82:83]
	buffer_store_dword v106, off, s[64:67], 0 offset:568 ; 4-byte Folded Spill
	s_nop 0
	buffer_store_dword v107, off, s[64:67], 0 offset:572 ; 4-byte Folded Spill
	buffer_store_dword v108, off, s[64:67], 0 offset:576 ; 4-byte Folded Spill
	s_nop 0
	buffer_store_dword v109, off, s[64:67], 0 offset:580 ; 4-byte Folded Spill
	v_mov_b32_e32 v109, v11
	buffer_store_dword v12, off, s[64:67], 0 offset:648 ; 4-byte Folded Spill
	s_nop 0
	buffer_store_dword v13, off, s[64:67], 0 offset:652 ; 4-byte Folded Spill
	v_mov_b32_e32 v108, v10
	v_add_f64 v[2:3], v[2:3], v[84:85]
	v_fma_f64 v[6:7], v[209:210], s[50:51], v[4:5]
	v_mul_f64 v[84:85], v[122:123], s[4:5]
	v_add_f64 v[0:1], v[0:1], v[86:87]
	v_mul_f64 v[86:87], v[221:222], s[40:41]
	v_fma_f64 v[4:5], v[209:210], s[40:41], v[4:5]
	v_mov_b32_e32 v107, v9
	v_mov_b32_e32 v106, v8
	;; [unrolled: 1-line block ×3, first 2 shown]
	v_add_f64 v[6:7], v[22:23], v[6:7]
	v_fma_f64 v[80:81], v[227:228], s[26:27], v[84:85]
	v_mov_b32_e32 v10, v224
	v_mov_b32_e32 v11, v225
	v_mov_b32_e32 v12, v226
	v_mul_f64 v[223:224], v[229:230], s[54:55]
	v_fma_f64 v[84:85], v[227:228], s[54:55], v[84:85]
	v_add_f64 v[4:5], v[22:23], v[4:5]
	v_mul_f64 v[225:226], v[142:143], s[22:23]
	v_add_f64 v[6:7], v[80:81], v[6:7]
	v_fma_f64 v[80:81], v[94:95], s[24:25], v[86:87]
	buffer_store_dword v231, off, s[64:67], 0 offset:616 ; 4-byte Folded Spill
	s_nop 0
	buffer_store_dword v232, off, s[64:67], 0 offset:620 ; 4-byte Folded Spill
	v_mul_f64 v[231:232], v[98:99], s[52:53]
	v_fma_f64 v[82:83], v[120:121], s[4:5], v[223:224]
	buffer_store_dword v90, off, s[64:67], 0 offset:560 ; 4-byte Folded Spill
	s_nop 0
	buffer_store_dword v91, off, s[64:67], 0 offset:564 ; 4-byte Folded Spill
	buffer_store_dword v88, off, s[64:67], 0 offset:664 ; 4-byte Folded Spill
	s_nop 0
	buffer_store_dword v89, off, s[64:67], 0 offset:668 ; 4-byte Folded Spill
	v_add_f64 v[4:5], v[84:85], v[4:5]
	v_fma_f64 v[84:85], v[94:95], s[24:25], -v[86:87]
	v_fma_f64 v[86:87], v[120:121], s[4:5], -v[223:224]
	v_add_f64 v[80:81], v[20:21], v[80:81]
	v_mov_b32_e32 v88, v235
	v_mov_b32_e32 v89, v236
	;; [unrolled: 1-line block ×4, first 2 shown]
	v_mul_f64 v[235:236], v[154:155], s[16:17]
	v_add_f64 v[84:85], v[20:21], v[84:85]
	v_mul_f64 v[237:238], v[112:113], s[46:47]
	v_add_f64 v[80:81], v[82:83], v[80:81]
	v_fma_f64 v[82:83], v[233:234], s[48:49], v[225:226]
	buffer_store_dword v114, off, s[64:67], 0 offset:584 ; 4-byte Folded Spill
	s_nop 0
	buffer_store_dword v115, off, s[64:67], 0 offset:588 ; 4-byte Folded Spill
	buffer_store_dword v116, off, s[64:67], 0 offset:624 ; 4-byte Folded Spill
	s_nop 0
	buffer_store_dword v117, off, s[64:67], 0 offset:628 ; 4-byte Folded Spill
	v_mov_b32_e32 v114, v239
	v_mov_b32_e32 v115, v240
	;; [unrolled: 1-line block ×3, first 2 shown]
	v_add_f64 v[84:85], v[86:87], v[84:85]
	v_fma_f64 v[86:87], v[233:234], s[52:53], v[225:226]
	v_mov_b32_e32 v117, v242
	v_add_f64 v[6:7], v[82:83], v[6:7]
	v_fma_f64 v[82:83], v[138:139], s[22:23], v[231:232]
	v_mul_f64 v[239:240], v[172:173], s[20:21]
	v_mul_f64 v[241:242], v[156:157], s[42:43]
	buffer_store_dword v243, off, s[64:67], 0 offset:592 ; 4-byte Folded Spill
	s_nop 0
	buffer_store_dword v244, off, s[64:67], 0 offset:596 ; 4-byte Folded Spill
	v_mul_f64 v[243:244], v[191:192], s[6:7]
	v_add_f64 v[4:5], v[86:87], v[4:5]
	v_fma_f64 v[86:87], v[138:139], s[22:23], -v[231:232]
	buffer_store_dword v245, off, s[64:67], 0 offset:600 ; 4-byte Folded Spill
	s_nop 0
	buffer_store_dword v246, off, s[64:67], 0 offset:604 ; 4-byte Folded Spill
	v_add_f64 v[80:81], v[82:83], v[80:81]
	v_fma_f64 v[82:83], v[104:105], s[34:35], v[235:236]
	v_mul_f64 v[245:246], v[162:163], s[56:57]
	buffer_store_dword v247, off, s[64:67], 0 offset:608 ; 4-byte Folded Spill
	s_nop 0
	buffer_store_dword v248, off, s[64:67], 0 offset:612 ; 4-byte Folded Spill
	v_mul_f64 v[247:248], v[203:204], s[18:19]
	buffer_store_dword v249, off, s[64:67], 0 offset:656 ; 4-byte Folded Spill
	s_nop 0
	buffer_store_dword v250, off, s[64:67], 0 offset:660 ; 4-byte Folded Spill
	v_add_f64 v[84:85], v[86:87], v[84:85]
	v_fma_f64 v[86:87], v[104:105], s[46:47], v[235:236]
	v_mul_f64 v[249:250], v[164:165], s[38:39]
	v_add_f64 v[6:7], v[82:83], v[6:7]
	v_fma_f64 v[82:83], v[152:153], s[16:17], v[237:238]
	buffer_store_dword v251, off, s[64:67], 0 offset:632 ; 4-byte Folded Spill
	s_nop 0
	buffer_store_dword v252, off, s[64:67], 0 offset:636 ; 4-byte Folded Spill
	v_mul_f64 v[251:252], v[217:218], s[10:11]
	v_mov_b32_e32 v8, v254
	v_mul_f64 v[223:224], v[122:123], s[6:7]
	v_add_f64 v[4:5], v[86:87], v[4:5]
	v_fma_f64 v[86:87], v[152:153], s[16:17], -v[237:238]
	v_add_f64 v[2:3], v[2:3], v[76:77]
	v_add_f64 v[80:81], v[82:83], v[80:81]
	v_fma_f64 v[82:83], v[124:125], s[58:59], v[239:240]
	v_mul_f64 v[225:226], v[142:143], s[10:11]
	v_mul_f64 v[231:232], v[154:155], s[20:21]
	v_fma_f64 v[76:77], v[227:228], s[36:37], v[223:224]
	v_mul_f64 v[235:236], v[172:173], s[4:5]
	v_add_f64 v[84:85], v[86:87], v[84:85]
	v_fma_f64 v[86:87], v[124:125], s[42:43], v[239:240]
	v_mul_f64 v[237:238], v[191:192], s[24:25]
	v_add_f64 v[6:7], v[82:83], v[6:7]
	v_fma_f64 v[82:83], v[168:169], s[20:21], v[241:242]
	v_mul_f64 v[239:240], v[203:204], s[16:17]
	v_mul_f64 v[221:222], v[221:222], s[52:53]
	v_mul_f64 v[229:230], v[229:230], s[56:57]
	v_add_f64 v[0:1], v[0:1], v[78:79]
	v_add_f64 v[4:5], v[86:87], v[4:5]
	v_fma_f64 v[86:87], v[168:169], s[20:21], -v[241:242]
	v_mul_f64 v[98:99], v[98:99], s[30:31]
	v_add_f64 v[80:81], v[82:83], v[80:81]
	v_fma_f64 v[82:83], v[158:159], s[36:37], v[243:244]
	v_mul_f64 v[112:113], v[112:113], s[58:59]
	v_fma_f64 v[78:79], v[120:121], s[6:7], v[229:230]
	v_mul_f64 v[156:157], v[156:157], s[26:27]
	v_mul_f64 v[162:163], v[162:163], s[40:41]
	v_add_f64 v[84:85], v[86:87], v[84:85]
	v_fma_f64 v[86:87], v[158:159], s[56:57], v[243:244]
	v_mul_f64 v[164:165], v[164:165], s[46:47]
	v_add_f64 v[6:7], v[82:83], v[6:7]
	v_fma_f64 v[82:83], v[189:190], s[6:7], v[245:246]
	;; [unrolled: 3-line block ×3, first 2 shown]
	v_add_f64 v[0:1], v[0:1], v[74:75]
	v_add_f64 v[4:5], v[86:87], v[4:5]
	v_fma_f64 v[86:87], v[160:161], s[38:39], v[247:248]
	v_fma_f64 v[74:75], v[120:121], s[6:7], -v[229:230]
	v_add_f64 v[80:81], v[82:83], v[80:81]
	v_fma_f64 v[82:83], v[160:161], s[44:45], v[247:248]
	v_add_f64 v[2:3], v[2:3], v[68:69]
	v_mul_f64 v[68:69], v[122:123], s[18:19]
	v_add_f64 v[0:1], v[0:1], v[70:71]
	v_mul_f64 v[70:71], v[94:95], s[20:21]
	v_add_f64 v[4:5], v[86:87], v[4:5]
	v_fma_f64 v[86:87], v[189:190], s[6:7], -v[245:246]
	v_add_f64 v[6:7], v[82:83], v[6:7]
	v_fma_f64 v[82:83], v[201:202], s[18:19], v[249:250]
	v_add_f64 v[68:69], v[197:198], v[68:69]
	v_add_f64 v[2:3], v[2:3], v[64:65]
	v_add_f64 v[70:71], v[70:71], -v[174:175]
	v_mul_f64 v[64:65], v[122:123], s[22:23]
	v_add_f64 v[84:85], v[86:87], v[84:85]
	v_fma_f64 v[86:87], v[201:202], s[18:19], -v[249:250]
	v_add_f64 v[0:1], v[0:1], v[66:67]
	v_add_f64 v[80:81], v[82:83], v[80:81]
	v_fma_f64 v[82:83], v[166:167], s[30:31], v[251:252]
	v_mul_f64 v[66:67], v[94:95], s[18:19]
	v_add_f64 v[70:71], v[20:21], v[70:71]
	v_add_f64 v[64:65], v[134:135], v[64:65]
	v_mul_f64 v[134:135], v[138:139], s[20:21]
	v_add_f64 v[84:85], v[86:87], v[84:85]
	v_fma_f64 v[86:87], v[166:167], s[60:61], v[251:252]
	v_add_f64 v[2:3], v[2:3], v[24:25]
	v_add_f64 v[82:83], v[82:83], v[6:7]
	v_mul_f64 v[6:7], v[170:171], s[60:61]
	v_mul_f64 v[170:171], v[170:171], s[38:39]
	v_add_f64 v[0:1], v[0:1], v[26:27]
	v_add_f64 v[86:87], v[86:87], v[4:5]
	v_mul_f64 v[4:5], v[96:97], s[22:23]
	v_add_f64 v[2:3], v[2:3], v[28:29]
	v_fma_f64 v[253:254], v[215:216], s[10:11], v[6:7]
	v_fma_f64 v[6:7], v[215:216], s[10:11], -v[6:7]
	v_add_f64 v[0:1], v[0:1], v[30:31]
	v_add_f64 v[2:3], v[2:3], v[32:33]
	;; [unrolled: 1-line block ×4, first 2 shown]
	v_fma_f64 v[6:7], v[209:210], s[48:49], v[4:5]
	v_fma_f64 v[4:5], v[209:210], s[52:53], v[4:5]
	v_mov_b32_e32 v254, v8
	v_add_f64 v[0:1], v[0:1], v[34:35]
	v_add_f64 v[2:3], v[2:3], v[36:37]
	;; [unrolled: 1-line block ×7, first 2 shown]
	v_fma_f64 v[76:77], v[233:234], s[60:61], v[225:226]
	v_add_f64 v[4:5], v[72:73], v[4:5]
	v_fma_f64 v[72:73], v[104:105], s[58:59], v[231:232]
	v_add_f64 v[0:1], v[0:1], v[42:43]
	v_add_f64 v[2:3], v[2:3], v[44:45]
	;; [unrolled: 1-line block ×3, first 2 shown]
	v_fma_f64 v[76:77], v[104:105], s[42:43], v[231:232]
	v_mul_f64 v[104:105], v[96:97], s[10:11]
	v_add_f64 v[0:1], v[0:1], v[46:47]
	v_add_f64 v[2:3], v[2:3], v[48:49]
	v_add_f64 v[6:7], v[76:77], v[6:7]
	v_fma_f64 v[76:77], v[124:125], s[54:55], v[235:236]
	v_add_f64 v[0:1], v[0:1], v[50:51]
	v_add_f64 v[2:3], v[2:3], v[52:53]
	v_add_f64 v[6:7], v[76:77], v[6:7]
	v_fma_f64 v[76:77], v[158:159], s[50:51], v[237:238]
	;; [unrolled: 4-line block ×3, first 2 shown]
	v_add_f64 v[0:1], v[0:1], v[58:59]
	v_add_f64 v[6:7], v[76:77], v[6:7]
	v_fma_f64 v[76:77], v[94:95], s[22:23], v[221:222]
	v_add_f64 v[76:77], v[20:21], v[76:77]
	v_add_f64 v[76:77], v[78:79], v[76:77]
	v_fma_f64 v[78:79], v[138:139], s[10:11], v[98:99]
	v_add_f64 v[76:77], v[78:79], v[76:77]
	v_fma_f64 v[78:79], v[152:153], s[20:21], v[112:113]
	v_add_f64 v[76:77], v[78:79], v[76:77]
	v_fma_f64 v[78:79], v[168:169], s[4:5], v[156:157]
	v_add_f64 v[76:77], v[78:79], v[76:77]
	v_fma_f64 v[78:79], v[189:190], s[24:25], v[162:163]
	v_add_f64 v[76:77], v[78:79], v[76:77]
	v_fma_f64 v[78:79], v[201:202], s[16:17], v[164:165]
	v_add_f64 v[76:77], v[78:79], v[76:77]
	v_fma_f64 v[78:79], v[166:167], s[44:45], v[241:242]
	v_add_f64 v[78:79], v[78:79], v[6:7]
	v_fma_f64 v[6:7], v[215:216], s[18:19], v[170:171]
	v_add_f64 v[76:77], v[6:7], v[76:77]
	v_fma_f64 v[6:7], v[233:234], s[30:31], v[225:226]
	v_mov_b32_e32 v226, v12
	v_mov_b32_e32 v225, v11
	;; [unrolled: 1-line block ×4, first 2 shown]
	buffer_load_dword v12, off, s[64:67], 0 offset:552 ; 4-byte Folded Reload
	buffer_load_dword v13, off, s[64:67], 0 offset:556 ; 4-byte Folded Reload
	v_mov_b32_e32 v8, v106
	v_mov_b32_e32 v9, v107
	v_add_f64 v[4:5], v[6:7], v[4:5]
	v_fma_f64 v[6:7], v[124:125], s[26:27], v[235:236]
	v_mov_b32_e32 v10, v108
	v_mov_b32_e32 v11, v109
	v_mul_f64 v[108:109], v[122:123], s[24:25]
	v_mul_f64 v[106:107], v[189:190], s[22:23]
	;; [unrolled: 1-line block ×3, first 2 shown]
	v_add_f64 v[4:5], v[72:73], v[4:5]
	v_fma_f64 v[72:73], v[158:159], s[40:41], v[237:238]
	v_mov_b32_e32 v238, v91
	v_mov_b32_e32 v237, v90
	;; [unrolled: 1-line block ×4, first 2 shown]
	v_mul_f64 v[158:159], v[189:190], s[4:5]
	v_add_f64 v[4:5], v[6:7], v[4:5]
	v_fma_f64 v[6:7], v[160:161], s[46:47], v[239:240]
	v_mul_f64 v[160:161], v[203:204], s[22:23]
	v_add_f64 v[4:5], v[72:73], v[4:5]
	v_fma_f64 v[72:73], v[166:167], s[38:39], v[241:242]
	v_mov_b32_e32 v242, v117
	v_mov_b32_e32 v241, v116
	;; [unrolled: 1-line block ×4, first 2 shown]
	v_mul_f64 v[114:115], v[172:173], s[16:17]
	v_mul_f64 v[116:117], v[203:204], s[10:11]
	v_add_f64 v[4:5], v[6:7], v[4:5]
	v_fma_f64 v[6:7], v[94:95], s[22:23], -v[221:222]
	v_mul_f64 v[166:167], v[215:216], s[24:25]
	v_add_f64 v[6:7], v[20:21], v[6:7]
	v_add_f64 v[6:7], v[74:75], v[6:7]
	v_fma_f64 v[74:75], v[138:139], s[10:11], -v[98:99]
	v_fma_f64 v[98:99], v[215:216], s[18:19], -v[170:171]
	v_mul_f64 v[170:171], v[217:218], s[4:5]
	v_add_f64 v[6:7], v[74:75], v[6:7]
	v_fma_f64 v[74:75], v[152:153], s[20:21], -v[112:113]
	v_mul_f64 v[112:113], v[215:216], s[16:17]
	v_add_f64 v[6:7], v[74:75], v[6:7]
	;; [unrolled: 3-line block ×3, first 2 shown]
	v_fma_f64 v[74:75], v[189:190], s[24:25], -v[162:163]
	s_waitcnt vmcnt(0)
	v_add_f64 v[66:67], v[66:67], -v[12:13]
	buffer_load_dword v12, off, s[64:67], 0 offset:512 ; 4-byte Folded Reload
	buffer_load_dword v13, off, s[64:67], 0 offset:516 ; 4-byte Folded Reload
	v_mul_f64 v[162:163], v[203:204], s[6:7]
	v_add_f64 v[6:7], v[74:75], v[6:7]
	v_fma_f64 v[74:75], v[201:202], s[16:17], -v[164:165]
	v_add_f64 v[66:67], v[20:21], v[66:67]
	v_mul_f64 v[164:165], v[201:202], s[10:11]
	v_add_f64 v[6:7], v[74:75], v[6:7]
	v_add_f64 v[74:75], v[72:73], v[4:5]
	v_mul_f64 v[4:5], v[142:143], s[4:5]
	v_add_f64 v[72:73], v[98:99], v[6:7]
	v_mul_f64 v[6:7], v[96:97], s[20:21]
	;; [unrolled: 2-line block ×3, first 2 shown]
	v_add_f64 v[6:7], v[195:196], v[6:7]
	v_add_f64 v[98:99], v[98:99], -v[176:177]
	v_add_f64 v[6:7], v[22:23], v[6:7]
	v_add_f64 v[70:71], v[98:99], v[70:71]
	v_mul_f64 v[98:99], v[152:153], s[22:23]
	v_add_f64 v[6:7], v[68:69], v[6:7]
	v_mul_f64 v[68:69], v[154:155], s[22:23]
	v_add_f64 v[98:99], v[98:99], -v[178:179]
	v_add_f64 v[4:5], v[4:5], v[6:7]
	v_add_f64 v[68:69], v[199:200], v[68:69]
	v_mul_f64 v[6:7], v[172:173], s[10:11]
	v_add_f64 v[4:5], v[68:69], v[4:5]
	v_add_f64 v[6:7], v[207:208], v[6:7]
	v_mul_f64 v[68:69], v[191:192], s[16:17]
	v_add_f64 v[4:5], v[6:7], v[4:5]
	v_add_f64 v[68:69], v[211:212], v[68:69]
	v_mul_f64 v[6:7], v[203:204], s[24:25]
	v_add_f64 v[4:5], v[68:69], v[4:5]
	v_add_f64 v[6:7], v[213:214], v[6:7]
	v_mul_f64 v[68:69], v[217:218], s[6:7]
	v_add_f64 v[4:5], v[6:7], v[4:5]
	v_mul_f64 v[6:7], v[138:139], s[4:5]
	v_add_f64 v[68:69], v[219:220], v[68:69]
	v_add_f64 v[6:7], v[6:7], -v[180:181]
	v_add_f64 v[6:7], v[6:7], v[70:71]
	v_mul_f64 v[70:71], v[168:169], s[10:11]
	v_add_f64 v[6:7], v[98:99], v[6:7]
	v_add_f64 v[70:71], v[70:71], -v[182:183]
	v_mul_f64 v[98:99], v[189:190], s[16:17]
	v_add_f64 v[6:7], v[70:71], v[6:7]
	v_add_f64 v[98:99], v[98:99], -v[184:185]
	;; [unrolled: 3-line block ×4, first 2 shown]
	v_add_f64 v[70:71], v[68:69], v[4:5]
	v_mul_f64 v[4:5], v[142:143], s[16:17]
	v_add_f64 v[68:69], v[98:99], v[6:7]
	v_mul_f64 v[6:7], v[96:97], s[18:19]
	;; [unrolled: 2-line block ×3, first 2 shown]
	v_mul_f64 v[140:141], v[154:155], s[10:11]
	v_add_f64 v[6:7], v[132:133], v[6:7]
	v_mul_f64 v[132:133], v[142:143], s[6:7]
	v_add_f64 v[98:99], v[98:99], -v[110:111]
	v_mul_f64 v[110:111], v[201:202], s[20:21]
	v_add_f64 v[6:7], v[22:23], v[6:7]
	v_add_f64 v[66:67], v[98:99], v[66:67]
	v_mul_f64 v[98:99], v[152:153], s[6:7]
	v_add_f64 v[6:7], v[64:65], v[6:7]
	v_mul_f64 v[64:65], v[154:155], s[6:7]
	v_add_f64 v[98:99], v[98:99], -v[18:19]
	v_add_f64 v[4:5], v[4:5], v[6:7]
	v_add_f64 v[64:65], v[136:137], v[64:65]
	v_mul_f64 v[6:7], v[172:173], s[24:25]
	v_mul_f64 v[136:137], v[142:143], s[20:21]
	v_add_f64 v[4:5], v[64:65], v[4:5]
	v_add_f64 v[6:7], v[144:145], v[6:7]
	v_mul_f64 v[64:65], v[191:192], s[10:11]
	v_mul_f64 v[144:145], v[154:155], s[24:25]
	v_add_f64 v[4:5], v[6:7], v[4:5]
	v_add_f64 v[64:65], v[146:147], v[64:65]
	v_mul_f64 v[6:7], v[203:204], s[4:5]
	v_mul_f64 v[146:147], v[168:169], s[18:19]
	v_add_f64 v[4:5], v[64:65], v[4:5]
	v_add_f64 v[6:7], v[148:149], v[6:7]
	v_mul_f64 v[64:65], v[217:218], s[20:21]
	v_mul_f64 v[148:149], v[168:169], s[22:23]
	v_add_f64 v[4:5], v[6:7], v[4:5]
	v_mul_f64 v[6:7], v[138:139], s[16:17]
	v_add_f64 v[64:65], v[150:151], v[64:65]
	v_mul_f64 v[150:151], v[172:173], s[22:23]
	v_add_f64 v[6:7], v[6:7], -v[92:93]
	v_mul_f64 v[92:93], v[94:95], s[10:11]
	v_add_f64 v[64:65], v[64:65], v[4:5]
	v_add_f64 v[6:7], v[6:7], v[66:67]
	v_mul_f64 v[66:67], v[168:169], s[24:25]
	v_add_f64 v[6:7], v[98:99], v[6:7]
	v_add_f64 v[66:67], v[66:67], -v[118:119]
	v_mul_f64 v[98:99], v[189:190], s[10:11]
	v_mul_f64 v[118:119], v[191:192], s[4:5]
	v_add_f64 v[6:7], v[66:67], v[6:7]
	v_add_f64 v[98:99], v[98:99], -v[126:127]
	v_mul_f64 v[66:67], v[201:202], s[4:5]
	;; [unrolled: 4-line block ×3, first 2 shown]
	v_mul_f64 v[128:129], v[138:139], s[6:7]
	v_add_f64 v[6:7], v[66:67], v[6:7]
	v_mul_f64 v[66:67], v[142:143], s[18:19]
	v_add_f64 v[98:99], v[98:99], -v[130:131]
	v_mul_f64 v[130:131], v[138:139], s[24:25]
	s_waitcnt vmcnt(0)
	v_add_f64 v[66:67], v[12:13], v[66:67]
	buffer_load_dword v12, off, s[64:67], 0 offset:664 ; 4-byte Folded Reload
	buffer_load_dword v13, off, s[64:67], 0 offset:668 ; 4-byte Folded Reload
	s_waitcnt vmcnt(0)
	v_add_f64 v[104:105], v[12:13], v[104:105]
	buffer_load_dword v12, off, s[64:67], 0 offset:496 ; 4-byte Folded Reload
	buffer_load_dword v13, off, s[64:67], 0 offset:500 ; 4-byte Folded Reload
	v_add_f64 v[104:105], v[22:23], v[104:105]
	s_waitcnt vmcnt(0)
	v_add_f64 v[108:109], v[12:13], v[108:109]
	buffer_load_dword v12, off, s[64:67], 0 offset:504 ; 4-byte Folded Reload
	buffer_load_dword v13, off, s[64:67], 0 offset:508 ; 4-byte Folded Reload
	v_add_f64 v[104:105], v[108:109], v[104:105]
	v_mul_f64 v[108:109], v[154:155], s[4:5]
	v_add_f64 v[66:67], v[66:67], v[104:105]
	v_mul_f64 v[104:105], v[172:173], s[6:7]
	s_waitcnt vmcnt(0)
	v_add_f64 v[108:109], v[12:13], v[108:109]
	buffer_load_dword v12, off, s[64:67], 0 offset:520 ; 4-byte Folded Reload
	buffer_load_dword v13, off, s[64:67], 0 offset:524 ; 4-byte Folded Reload
	v_add_f64 v[66:67], v[108:109], v[66:67]
	v_mul_f64 v[108:109], v[122:123], s[20:21]
	v_mul_f64 v[122:123], v[122:123], s[10:11]
	s_waitcnt vmcnt(0)
	v_add_f64 v[88:89], v[12:13], v[104:105]
	buffer_load_dword v12, off, s[64:67], 0 offset:528 ; 4-byte Folded Reload
	buffer_load_dword v13, off, s[64:67], 0 offset:532 ; 4-byte Folded Reload
	v_mul_f64 v[104:105], v[191:192], s[22:23]
	v_add_f64 v[66:67], v[88:89], v[66:67]
	v_mul_f64 v[88:89], v[203:204], s[20:21]
	s_waitcnt vmcnt(0)
	v_add_f64 v[90:91], v[12:13], v[104:105]
	buffer_load_dword v12, off, s[64:67], 0 offset:536 ; 4-byte Folded Reload
	buffer_load_dword v13, off, s[64:67], 0 offset:540 ; 4-byte Folded Reload
	v_mul_f64 v[104:105], v[120:121], s[24:25]
	v_add_f64 v[66:67], v[90:91], v[66:67]
	v_mul_f64 v[90:91], v[217:218], s[16:17]
	s_waitcnt vmcnt(0)
	v_add_f64 v[88:89], v[12:13], v[88:89]
	buffer_load_dword v12, off, s[64:67], 0 offset:544 ; 4-byte Folded Reload
	buffer_load_dword v13, off, s[64:67], 0 offset:548 ; 4-byte Folded Reload
	v_add_f64 v[66:67], v[88:89], v[66:67]
	v_mul_f64 v[88:89], v[138:139], s[18:19]
	v_mul_f64 v[138:139], v[152:153], s[10:11]
	s_waitcnt vmcnt(0)
	v_add_f64 v[90:91], v[12:13], v[90:91]
	buffer_load_dword v12, off, s[64:67], 0 offset:464 ; 4-byte Folded Reload
	buffer_load_dword v13, off, s[64:67], 0 offset:468 ; 4-byte Folded Reload
	v_add_f64 v[90:91], v[90:91], v[66:67]
	s_waitcnt vmcnt(0)
	v_add_f64 v[88:89], v[88:89], -v[12:13]
	buffer_load_dword v12, off, s[64:67], 0 offset:8 ; 4-byte Folded Reload
	buffer_load_dword v13, off, s[64:67], 0 offset:12 ; 4-byte Folded Reload
	s_waitcnt vmcnt(0)
	v_add_f64 v[92:93], v[92:93], -v[12:13]
	buffer_load_dword v12, off, s[64:67], 0 offset:640 ; 4-byte Folded Reload
	buffer_load_dword v13, off, s[64:67], 0 offset:644 ; 4-byte Folded Reload
	v_add_f64 v[92:93], v[20:21], v[92:93]
	s_waitcnt vmcnt(0)
	v_add_f64 v[104:105], v[104:105], -v[12:13]
	buffer_load_dword v12, off, s[64:67], 0 offset:648 ; 4-byte Folded Reload
	buffer_load_dword v13, off, s[64:67], 0 offset:652 ; 4-byte Folded Reload
	v_add_f64 v[92:93], v[104:105], v[92:93]
	v_mul_f64 v[104:105], v[152:153], s[4:5]
	v_add_f64 v[88:89], v[88:89], v[92:93]
	v_mul_f64 v[92:93], v[168:169], s[6:7]
	s_waitcnt vmcnt(0)
	v_add_f64 v[104:105], v[104:105], -v[12:13]
	buffer_load_dword v12, off, s[64:67], 0 offset:480 ; 4-byte Folded Reload
	buffer_load_dword v13, off, s[64:67], 0 offset:484 ; 4-byte Folded Reload
	v_add_f64 v[88:89], v[104:105], v[88:89]
	v_mul_f64 v[104:105], v[96:97], s[6:7]
	s_waitcnt vmcnt(0)
	v_add_f64 v[92:93], v[92:93], -v[12:13]
	buffer_load_dword v12, off, s[64:67], 0 offset:656 ; 4-byte Folded Reload
	buffer_load_dword v13, off, s[64:67], 0 offset:660 ; 4-byte Folded Reload
	v_add_f64 v[88:89], v[92:93], v[88:89]
	v_mul_f64 v[92:93], v[142:143], s[24:25]
	v_mul_f64 v[142:143], v[152:153], s[24:25]
	s_waitcnt vmcnt(0)
	v_add_f64 v[104:105], v[12:13], v[104:105]
	buffer_load_dword v12, off, s[64:67], 0 offset:488 ; 4-byte Folded Reload
	buffer_load_dword v13, off, s[64:67], 0 offset:492 ; 4-byte Folded Reload
	v_add_f64 v[104:105], v[22:23], v[104:105]
	s_waitcnt vmcnt(0)
	v_add_f64 v[106:107], v[106:107], -v[12:13]
	buffer_load_dword v12, off, s[64:67], 0 offset:72 ; 4-byte Folded Reload
	buffer_load_dword v13, off, s[64:67], 0 offset:76 ; 4-byte Folded Reload
	v_add_f64 v[88:89], v[106:107], v[88:89]
	v_mul_f64 v[106:107], v[96:97], s[4:5]
	v_mul_f64 v[96:97], v[96:97], s[16:17]
	s_waitcnt vmcnt(0)
	v_add_f64 v[108:109], v[12:13], v[108:109]
	buffer_load_dword v12, off, s[64:67], 0 offset:224 ; 4-byte Folded Reload
	buffer_load_dword v13, off, s[64:67], 0 offset:228 ; 4-byte Folded Reload
	v_add_f64 v[104:105], v[108:109], v[104:105]
	v_mul_f64 v[108:109], v[154:155], s[18:19]
	v_mul_f64 v[154:155], v[189:190], s[18:19]
	s_waitcnt vmcnt(0)
	v_add_f64 v[92:93], v[12:13], v[92:93]
	buffer_load_dword v12, off, s[64:67], 0 offset:472 ; 4-byte Folded Reload
	buffer_load_dword v13, off, s[64:67], 0 offset:476 ; 4-byte Folded Reload
	v_add_f64 v[92:93], v[92:93], v[104:105]
	v_mul_f64 v[104:105], v[94:95], s[4:5]
	s_waitcnt vmcnt(0)
	v_add_f64 v[110:111], v[110:111], -v[12:13]
	buffer_load_dword v12, off, s[64:67], 0 offset:312 ; 4-byte Folded Reload
	buffer_load_dword v13, off, s[64:67], 0 offset:316 ; 4-byte Folded Reload
	v_add_f64 v[88:89], v[110:111], v[88:89]
	v_mul_f64 v[110:111], v[152:153], s[18:19]
	v_mul_f64 v[152:153], v[168:169], s[16:17]
	v_mul_f64 v[168:169], v[215:216], s[4:5]
	s_waitcnt vmcnt(0)
	v_add_f64 v[108:109], v[12:13], v[108:109]
	buffer_load_dword v12, off, s[64:67], 0 offset:456 ; 4-byte Folded Reload
	buffer_load_dword v13, off, s[64:67], 0 offset:460 ; 4-byte Folded Reload
	v_add_f64 v[92:93], v[108:109], v[92:93]
	v_mul_f64 v[108:109], v[94:95], s[16:17]
	v_mul_f64 v[94:95], v[94:95], s[6:7]
	s_waitcnt vmcnt(0)
	v_add_f64 v[112:113], v[112:113], -v[12:13]
	buffer_load_dword v12, off, s[64:67], 0 offset:368 ; 4-byte Folded Reload
	buffer_load_dword v13, off, s[64:67], 0 offset:372 ; 4-byte Folded Reload
	v_add_f64 v[88:89], v[112:113], v[88:89]
	s_waitcnt vmcnt(0)
	v_add_f64 v[114:115], v[12:13], v[114:115]
	buffer_load_dword v12, off, s[64:67], 0 offset:448 ; 4-byte Folded Reload
	buffer_load_dword v13, off, s[64:67], 0 offset:452 ; 4-byte Folded Reload
	v_add_f64 v[92:93], v[114:115], v[92:93]
	v_mul_f64 v[114:115], v[120:121], s[10:11]
	v_mul_f64 v[120:121], v[120:121], s[20:21]
	s_waitcnt vmcnt(0)
	v_add_f64 v[116:117], v[12:13], v[116:117]
	buffer_load_dword v12, off, s[64:67], 0 offset:416 ; 4-byte Folded Reload
	buffer_load_dword v13, off, s[64:67], 0 offset:420 ; 4-byte Folded Reload
	s_waitcnt vmcnt(0)
	v_add_f64 v[118:119], v[12:13], v[118:119]
	buffer_load_dword v12, off, s[64:67], 0 offset:240 ; 4-byte Folded Reload
	buffer_load_dword v13, off, s[64:67], 0 offset:244 ; 4-byte Folded Reload
	v_add_f64 v[92:93], v[118:119], v[92:93]
	v_mul_f64 v[118:119], v[217:218], s[22:23]
	v_add_f64 v[92:93], v[116:117], v[92:93]
	s_waitcnt vmcnt(0)
	v_add_f64 v[110:111], v[110:111], -v[12:13]
	buffer_load_dword v12, off, s[64:67], 0 offset:616 ; 4-byte Folded Reload
	buffer_load_dword v13, off, s[64:67], 0 offset:620 ; 4-byte Folded Reload
	s_waitcnt vmcnt(0)
	v_add_f64 v[94:95], v[94:95], -v[12:13]
	buffer_load_dword v12, off, s[64:67], 0 offset:624 ; 4-byte Folded Reload
	buffer_load_dword v13, off, s[64:67], 0 offset:628 ; 4-byte Folded Reload
	v_add_f64 v[94:95], v[20:21], v[94:95]
	s_waitcnt vmcnt(0)
	v_add_f64 v[96:97], v[12:13], v[96:97]
	buffer_load_dword v12, off, s[64:67], 0 offset:24 ; 4-byte Folded Reload
	buffer_load_dword v13, off, s[64:67], 0 offset:28 ; 4-byte Folded Reload
	v_add_f64 v[96:97], v[22:23], v[96:97]
	s_waitcnt vmcnt(0)
	v_add_f64 v[120:121], v[120:121], -v[12:13]
	buffer_load_dword v12, off, s[64:67], 0 offset:144 ; 4-byte Folded Reload
	buffer_load_dword v13, off, s[64:67], 0 offset:148 ; 4-byte Folded Reload
	v_add_f64 v[94:95], v[120:121], v[94:95]
	v_mul_f64 v[120:121], v[172:173], s[18:19]
	v_mul_f64 v[172:173], v[215:216], s[22:23]
	s_waitcnt vmcnt(0)
	v_add_f64 v[130:131], v[130:131], -v[12:13]
	buffer_load_dword v12, off, s[64:67], 0 offset:632 ; 4-byte Folded Reload
	buffer_load_dword v13, off, s[64:67], 0 offset:636 ; 4-byte Folded Reload
	v_add_f64 v[94:95], v[130:131], v[94:95]
	v_mul_f64 v[130:131], v[191:192], s[20:21]
	v_add_f64 v[94:95], v[110:111], v[94:95]
	v_mul_f64 v[110:111], v[201:202], s[6:7]
	s_waitcnt vmcnt(0)
	v_add_f64 v[122:123], v[12:13], v[122:123]
	buffer_load_dword v12, off, s[64:67], 0 offset:128 ; 4-byte Folded Reload
	buffer_load_dword v13, off, s[64:67], 0 offset:132 ; 4-byte Folded Reload
	v_add_f64 v[96:97], v[122:123], v[96:97]
	v_mul_f64 v[122:123], v[189:190], s[20:21]
	s_waitcnt vmcnt(0)
	v_add_f64 v[136:137], v[12:13], v[136:137]
	buffer_load_dword v12, off, s[64:67], 0 offset:208 ; 4-byte Folded Reload
	buffer_load_dword v13, off, s[64:67], 0 offset:212 ; 4-byte Folded Reload
	;; [unrolled: 6-line block ×3, first 2 shown]
	v_add_f64 v[96:97], v[144:145], v[96:97]
	v_mul_f64 v[144:145], v[217:218], s[24:25]
	s_waitcnt vmcnt(0)
	v_add_f64 v[152:153], v[152:153], -v[12:13]
	buffer_load_dword v12, off, s[64:67], 0 offset:304 ; 4-byte Folded Reload
	buffer_load_dword v13, off, s[64:67], 0 offset:308 ; 4-byte Folded Reload
	v_add_f64 v[94:95], v[152:153], v[94:95]
	s_waitcnt vmcnt(0)
	v_add_f64 v[150:151], v[12:13], v[150:151]
	buffer_load_dword v12, off, s[64:67], 0 offset:360 ; 4-byte Folded Reload
	buffer_load_dword v13, off, s[64:67], 0 offset:364 ; 4-byte Folded Reload
	;; [unrolled: 1-line block ×4, first 2 shown]
	v_add_f64 v[96:97], v[150:151], v[96:97]
	s_waitcnt vmcnt(2)
	v_add_f64 v[156:157], v[12:13], v[156:157]
	buffer_load_dword v12, off, s[64:67], 0 offset:352 ; 4-byte Folded Reload
	buffer_load_dword v13, off, s[64:67], 0 offset:356 ; 4-byte Folded Reload
	s_waitcnt vmcnt(2)
	v_add_f64 v[4:5], v[4:5], v[118:119]
	v_add_f64 v[96:97], v[156:157], v[96:97]
	s_waitcnt vmcnt(0)
	v_add_f64 v[66:67], v[158:159], -v[12:13]
	buffer_load_dword v12, off, s[64:67], 0 offset:400 ; 4-byte Folded Reload
	buffer_load_dword v13, off, s[64:67], 0 offset:404 ; 4-byte Folded Reload
	v_add_f64 v[26:27], v[66:67], v[94:95]
	s_waitcnt vmcnt(0)
	v_add_f64 v[116:117], v[12:13], v[162:163]
	buffer_load_dword v12, off, s[64:67], 0 offset:432 ; 4-byte Folded Reload
	buffer_load_dword v13, off, s[64:67], 0 offset:436 ; 4-byte Folded Reload
	v_add_f64 v[96:97], v[116:117], v[96:97]
	s_waitcnt vmcnt(0)
	v_add_f64 v[118:119], v[172:173], -v[12:13]
	buffer_load_dword v12, off, s[64:67], 0 offset:392 ; 4-byte Folded Reload
	buffer_load_dword v13, off, s[64:67], 0 offset:396 ; 4-byte Folded Reload
	s_waitcnt vmcnt(0)
	v_add_f64 v[24:25], v[164:165], -v[12:13]
	buffer_load_dword v12, off, s[64:67], 0 offset:424 ; 4-byte Folded Reload
	buffer_load_dword v13, off, s[64:67], 0 offset:428 ; 4-byte Folded Reload
	s_waitcnt vmcnt(0)
	v_add_f64 v[66:67], v[12:13], v[170:171]
	buffer_load_dword v12, off, s[64:67], 0 offset:576 ; 4-byte Folded Reload
	buffer_load_dword v13, off, s[64:67], 0 offset:580 ; 4-byte Folded Reload
	s_waitcnt vmcnt(0)
	v_add_f64 v[94:95], v[12:13], v[106:107]
	buffer_load_dword v12, off, s[64:67], 0 offset:568 ; 4-byte Folded Reload
	buffer_load_dword v13, off, s[64:67], 0 offset:572 ; 4-byte Folded Reload
	v_add_f64 v[22:23], v[22:23], v[94:95]
	s_waitcnt vmcnt(0)
	v_add_f64 v[28:29], v[104:105], -v[12:13]
	buffer_load_dword v12, off, s[64:67], 0 offset:584 ; 4-byte Folded Reload
	buffer_load_dword v13, off, s[64:67], 0 offset:588 ; 4-byte Folded Reload
	v_add_f64 v[28:29], v[20:21], v[28:29]
	s_waitcnt vmcnt(0)
	v_add_f64 v[30:31], v[108:109], -v[12:13]
	;; [unrolled: 5-line block ×3, first 2 shown]
	buffer_load_dword v12, off, s[64:67], 0 offset:600 ; 4-byte Folded Reload
	buffer_load_dword v13, off, s[64:67], 0 offset:604 ; 4-byte Folded Reload
	v_add_f64 v[20:21], v[104:105], v[20:21]
	s_waitcnt vmcnt(0)
	v_add_f64 v[106:107], v[12:13], v[126:127]
	buffer_load_dword v12, off, s[64:67], 0 offset:592 ; 4-byte Folded Reload
	buffer_load_dword v13, off, s[64:67], 0 offset:596 ; 4-byte Folded Reload
	v_add_f64 v[22:23], v[106:107], v[22:23]
	s_waitcnt vmcnt(0)
	v_add_f64 v[94:95], v[124:125], -v[12:13]
	buffer_load_dword v12, off, s[64:67], 0 offset:56 ; 4-byte Folded Reload
	buffer_load_dword v13, off, s[64:67], 0 offset:60 ; 4-byte Folded Reload
	v_add_f64 v[28:29], v[94:95], v[28:29]
	s_waitcnt vmcnt(0)
	v_add_f64 v[30:31], v[134:135], -v[12:13]
	buffer_load_dword v12, off, s[64:67], 0 offset:40 ; 4-byte Folded Reload
	buffer_load_dword v13, off, s[64:67], 0 offset:44 ; 4-byte Folded Reload
	v_add_f64 v[20:21], v[30:31], v[20:21]
	s_waitcnt vmcnt(0)
	v_add_f64 v[32:33], v[12:13], v[132:133]
	buffer_load_dword v12, off, s[64:67], 0 offset:560 ; 4-byte Folded Reload
	buffer_load_dword v13, off, s[64:67], 0 offset:564 ; 4-byte Folded Reload
	v_add_f64 v[22:23], v[32:33], v[22:23]
	s_waitcnt vmcnt(0)
	v_add_f64 v[34:35], v[128:129], -v[12:13]
	buffer_load_dword v12, off, s[64:67], 0 offset:112 ; 4-byte Folded Reload
	buffer_load_dword v13, off, s[64:67], 0 offset:116 ; 4-byte Folded Reload
	v_add_f64 v[28:29], v[34:35], v[28:29]
	s_waitcnt vmcnt(0)
	v_add_f64 v[36:37], v[142:143], -v[12:13]
	;; [unrolled: 15-line block ×5, first 2 shown]
	buffer_load_dword v12, off, s[64:67], 0 offset:336 ; 4-byte Folded Reload
	buffer_load_dword v13, off, s[64:67], 0 offset:340 ; 4-byte Folded Reload
	v_add_f64 v[20:21], v[30:31], v[20:21]
	s_waitcnt vmcnt(0)
	v_add_f64 v[38:39], v[12:13], v[160:161]
	buffer_load_dword v12, off, s[64:67], 0 offset:328 ; 4-byte Folded Reload
	buffer_load_dword v13, off, s[64:67], 0 offset:332 ; 4-byte Folded Reload
	v_add_f64 v[34:35], v[38:39], v[22:23]
	v_add_f64 v[22:23], v[4:5], v[92:93]
	s_waitcnt vmcnt(0)
	v_add_f64 v[36:37], v[136:137], -v[12:13]
	buffer_load_dword v12, off, s[64:67], 0 offset:408 ; 4-byte Folded Reload
	buffer_load_dword v13, off, s[64:67], 0 offset:412 ; 4-byte Folded Reload
	v_add_f64 v[28:29], v[36:37], v[28:29]
	v_add_f64 v[36:37], v[24:25], v[26:27]
	v_add_f64 v[26:27], v[66:67], v[96:97]
	s_waitcnt vmcnt(0)
	v_add_f64 v[40:41], v[168:169], -v[12:13]
	buffer_load_dword v12, off, s[64:67], 0 offset:384 ; 4-byte Folded Reload
	buffer_load_dword v13, off, s[64:67], 0 offset:388 ; 4-byte Folded Reload
	v_add_f64 v[24:25], v[40:41], v[20:21]
	v_add_f64 v[20:21], v[118:119], v[36:37]
	s_waitcnt vmcnt(0)
	v_add_f64 v[32:33], v[12:13], v[144:145]
	buffer_load_dword v12, off, s[64:67], 0 offset:376 ; 4-byte Folded Reload
	buffer_load_dword v13, off, s[64:67], 0 offset:380 ; 4-byte Folded Reload
	v_add_f64 v[30:31], v[32:33], v[34:35]
	v_add_f64 v[34:35], v[0:1], v[62:63]
	;; [unrolled: 1-line block ×4, first 2 shown]
	v_mul_lo_u16_e32 v0, 17, v255
	v_add_lshl_u32 v0, v188, v0, 4
	s_waitcnt vmcnt(0)
	v_add_f64 v[38:39], v[166:167], -v[12:13]
	v_add_f64 v[28:29], v[38:39], v[28:29]
	ds_write_b128 v0, v[32:35]
	ds_write_b128 v0, v[28:31] offset:16
	ds_write_b128 v0, v[24:27] offset:32
	;; [unrolled: 1-line block ×16, first 2 shown]
.LBB0_7:
	s_or_b64 exec, exec, s[28:29]
	s_load_dwordx4 s[4:7], s[2:3], 0x0
	s_movk_i32 s2, 0xf1
	v_mul_lo_u16_sdwa v0, v255, s2 dst_sel:DWORD dst_unused:UNUSED_PAD src0_sel:BYTE_0 src1_sel:DWORD
	v_lshrrev_b16_e32 v44, 12, v0
	v_mul_lo_u16_e32 v0, 17, v44
	v_sub_u16_e32 v45, v255, v0
	v_mov_b32_e32 v0, 10
	v_mul_u32_u24_sdwa v0, v45, v0 dst_sel:DWORD dst_unused:UNUSED_PAD src0_sel:BYTE_0 src1_sel:DWORD
	v_lshlrev_b32_e32 v0, 4, v0
	s_waitcnt lgkmcnt(0)
	s_barrier
	global_load_dwordx4 v[68:71], v0, s[8:9]
	global_load_dwordx4 v[60:63], v0, s[8:9] offset:16
	global_load_dwordx4 v[30:33], v0, s[8:9] offset:32
	;; [unrolled: 1-line block ×9, first 2 shown]
	v_add_lshl_u32 v253, v188, v255, 4
	ds_read_b128 v[46:49], v253
	ds_read_b128 v[50:53], v253 offset:1632
	ds_read_b128 v[72:75], v253 offset:3264
	;; [unrolled: 1-line block ×10, first 2 shown]
	s_mov_b32 s28, 0xf8bb580b
	s_mov_b32 s29, 0xbfe14ced
	s_mov_b32 s20, 0x8764f0ba
	s_mov_b32 s16, 0x43842ef
	s_mov_b32 s24, 0xbb3a28a1
	s_mov_b32 s30, 0xfd768dbf
	s_mov_b32 s21, 0x3feaeb8c
	s_mov_b32 s19, 0xbfed1bb4
	s_mov_b32 s18, 0x8eee2c13
	s_mov_b32 s17, 0xbfefac9e
	s_mov_b32 s25, 0xbfe82f19
	s_mov_b32 s31, 0xbfd207e7
	s_mov_b32 s2, 0xd9c712b6
	s_mov_b32 s10, 0x640f44db
	s_mov_b32 s22, 0x7f775887
	s_mov_b32 s26, 0x9bcd5057
	s_mov_b32 s3, 0x3fda9628
	s_mov_b32 s11, 0xbfc2375f
	s_mov_b32 s23, 0xbfe4f49e
	s_mov_b32 s27, 0xbfeeb42a
	s_mov_b32 s39, 0x3fd207e7
	s_mov_b32 s38, s30
	s_mov_b32 s37, 0x3fefac9e
	s_mov_b32 s36, s16
	s_mov_b32 s35, 0x3fe14ced
	s_mov_b32 s34, s28
	s_waitcnt vmcnt(9) lgkmcnt(9)
	v_mul_f64 v[0:1], v[52:53], v[70:71]
	s_waitcnt vmcnt(8) lgkmcnt(8)
	v_mul_f64 v[4:5], v[74:75], v[62:63]
	s_waitcnt vmcnt(7) lgkmcnt(7)
	v_mul_f64 v[54:55], v[78:79], v[32:33]
	v_mul_f64 v[112:113], v[76:77], v[32:33]
	v_mul_f64 v[6:7], v[72:73], v[62:63]
	s_waitcnt vmcnt(6) lgkmcnt(6)
	v_mul_f64 v[114:115], v[82:83], v[24:25]
	s_waitcnt vmcnt(5) lgkmcnt(5)
	v_mul_f64 v[118:119], v[86:87], v[66:67]
	v_mul_f64 v[120:121], v[84:85], v[66:67]
	s_waitcnt vmcnt(4) lgkmcnt(4)
	v_mul_f64 v[124:125], v[88:89], v[38:39]
	s_waitcnt vmcnt(3) lgkmcnt(3)
	v_mul_f64 v[126:127], v[94:95], v[28:29]
	v_fma_f64 v[54:55], v[76:77], v[30:31], -v[54:55]
	buffer_store_dword v30, off, s[64:67], 0 offset:56 ; 4-byte Folded Spill
	s_nop 0
	buffer_store_dword v31, off, s[64:67], 0 offset:60 ; 4-byte Folded Spill
	buffer_store_dword v32, off, s[64:67], 0 offset:64 ; 4-byte Folded Spill
	;; [unrolled: 1-line block ×3, first 2 shown]
	s_waitcnt vmcnt(6) lgkmcnt(2)
	v_mul_f64 v[130:131], v[98:99], v[20:21]
	v_mul_f64 v[116:117], v[80:81], v[24:25]
	;; [unrolled: 1-line block ×5, first 2 shown]
	v_fma_f64 v[4:5], v[72:73], v[60:61], -v[4:5]
	v_fma_f64 v[6:7], v[74:75], v[60:61], v[6:7]
	v_fma_f64 v[74:75], v[80:81], v[22:23], -v[114:115]
	buffer_store_dword v22, off, s[64:67], 0 offset:24 ; 4-byte Folded Spill
	s_nop 0
	buffer_store_dword v23, off, s[64:67], 0 offset:28 ; 4-byte Folded Spill
	buffer_store_dword v24, off, s[64:67], 0 offset:32 ; 4-byte Folded Spill
	;; [unrolled: 1-line block ×3, first 2 shown]
	v_fma_f64 v[80:81], v[86:87], v[64:65], v[120:121]
	v_fma_f64 v[86:87], v[92:93], v[26:27], -v[126:127]
	buffer_store_dword v26, off, s[64:67], 0 offset:40 ; 4-byte Folded Spill
	s_nop 0
	buffer_store_dword v27, off, s[64:67], 0 offset:44 ; 4-byte Folded Spill
	buffer_store_dword v28, off, s[64:67], 0 offset:48 ; 4-byte Folded Spill
	buffer_store_dword v29, off, s[64:67], 0 offset:52 ; 4-byte Folded Spill
	s_waitcnt vmcnt(13) lgkmcnt(1)
	v_mul_f64 v[134:135], v[106:107], v[42:43]
	v_fma_f64 v[0:1], v[50:51], v[68:69], -v[0:1]
	v_mul_f64 v[2:3], v[50:51], v[70:71]
	s_waitcnt vmcnt(12) lgkmcnt(0)
	v_mul_f64 v[140:141], v[108:109], v[58:59]
	v_mul_f64 v[136:137], v[104:105], v[42:43]
	v_mul_f64 v[138:139], v[110:111], v[58:59]
	v_fma_f64 v[2:3], v[52:53], v[68:69], v[2:3]
	v_fma_f64 v[52:53], v[110:111], v[56:57], v[140:141]
	v_fma_f64 v[50:51], v[108:109], v[56:57], -v[138:139]
	v_add_f64 v[108:109], v[2:3], v[52:53]
	v_fma_f64 v[72:73], v[78:79], v[30:31], v[112:113]
	v_fma_f64 v[78:79], v[84:85], v[64:65], -v[118:119]
	v_fma_f64 v[84:85], v[90:91], v[36:37], v[124:125]
	v_fma_f64 v[90:91], v[96:97], v[18:19], -v[130:131]
	buffer_store_dword v18, off, s[64:67], 0 offset:8 ; 4-byte Folded Spill
	s_nop 0
	buffer_store_dword v19, off, s[64:67], 0 offset:12 ; 4-byte Folded Spill
	buffer_store_dword v20, off, s[64:67], 0 offset:16 ; 4-byte Folded Spill
	;; [unrolled: 1-line block ×3, first 2 shown]
	v_fma_f64 v[96:97], v[106:107], v[40:41], v[136:137]
	v_add_f64 v[106:107], v[0:1], v[50:51]
	s_waitcnt vmcnt(0)
	s_barrier
	v_fma_f64 v[76:77], v[82:83], v[22:23], v[116:117]
	v_fma_f64 v[82:83], v[88:89], v[36:37], -v[122:123]
	v_fma_f64 v[88:89], v[94:95], v[26:27], v[128:129]
	v_fma_f64 v[94:95], v[104:105], v[40:41], -v[134:135]
	v_add_f64 v[104:105], v[48:49], v[2:3]
	v_add_f64 v[112:113], v[6:7], v[96:97]
	v_add_f64 v[116:117], v[6:7], -v[96:97]
	v_add_f64 v[2:3], v[2:3], -v[52:53]
	v_add_f64 v[110:111], v[4:5], v[94:95]
	v_add_f64 v[114:115], v[4:5], -v[94:95]
	v_add_f64 v[6:7], v[104:105], v[6:7]
	v_mul_f64 v[130:131], v[116:117], s[18:19]
	v_mul_f64 v[118:119], v[2:3], s[18:19]
	;; [unrolled: 1-line block ×5, first 2 shown]
	v_add_f64 v[6:7], v[6:7], v[72:73]
	v_fma_f64 v[140:141], v[106:107], s[2:3], -v[118:119]
	v_fma_f64 v[118:119], v[106:107], s[2:3], v[118:119]
	v_fma_f64 v[144:145], v[106:107], s[10:11], -v[122:123]
	v_fma_f64 v[122:123], v[106:107], s[10:11], v[122:123]
	;; [unrolled: 2-line block ×3, first 2 shown]
	v_add_f64 v[6:7], v[6:7], v[76:77]
	v_add_f64 v[140:141], v[46:47], v[140:141]
	;; [unrolled: 1-line block ×9, first 2 shown]
	v_fma_f64 v[92:93], v[98:99], v[18:19], v[132:133]
	v_add_f64 v[98:99], v[46:47], v[0:1]
	v_add_f64 v[0:1], v[0:1], -v[50:51]
	v_mul_f64 v[132:133], v[114:115], s[18:19]
	v_add_f64 v[6:7], v[6:7], v[92:93]
	v_add_f64 v[4:5], v[98:99], v[4:5]
	v_mul_f64 v[98:99], v[2:3], s[28:29]
	v_mul_f64 v[104:105], v[0:1], s[28:29]
	;; [unrolled: 1-line block ×7, first 2 shown]
	v_add_f64 v[4:5], v[4:5], v[54:55]
	v_fma_f64 v[136:137], v[106:107], s[20:21], -v[98:99]
	v_fma_f64 v[138:139], v[108:109], s[20:21], v[104:105]
	v_fma_f64 v[104:105], v[108:109], s[20:21], -v[104:105]
	v_fma_f64 v[98:99], v[106:107], s[20:21], v[98:99]
	v_fma_f64 v[142:143], v[108:109], s[2:3], v[120:121]
	v_fma_f64 v[120:121], v[108:109], s[2:3], -v[120:121]
	v_fma_f64 v[146:147], v[108:109], s[10:11], v[124:125]
	v_add_f64 v[4:5], v[4:5], v[74:75]
	v_fma_f64 v[124:125], v[108:109], s[10:11], -v[124:125]
	v_fma_f64 v[150:151], v[108:109], s[22:23], v[128:129]
	v_fma_f64 v[128:129], v[108:109], s[22:23], -v[128:129]
	v_fma_f64 v[152:153], v[106:107], s[26:27], -v[2:3]
	v_fma_f64 v[154:155], v[108:109], s[26:27], v[0:1]
	v_fma_f64 v[2:3], v[106:107], s[26:27], v[2:3]
	v_fma_f64 v[0:1], v[108:109], s[26:27], -v[0:1]
	v_add_f64 v[4:5], v[4:5], v[78:79]
	v_fma_f64 v[106:107], v[110:111], s[2:3], -v[130:131]
	v_fma_f64 v[108:109], v[112:113], s[2:3], v[132:133]
	v_add_f64 v[136:137], v[46:47], v[136:137]
	v_add_f64 v[138:139], v[48:49], v[138:139]
	;; [unrolled: 1-line block ×3, first 2 shown]
	v_fma_f64 v[130:131], v[110:111], s[2:3], v[130:131]
	v_add_f64 v[98:99], v[46:47], v[98:99]
	v_add_f64 v[4:5], v[4:5], v[82:83]
	;; [unrolled: 1-line block ×14, first 2 shown]
	v_mul_f64 v[108:109], v[114:115], s[38:39]
	v_add_f64 v[98:99], v[130:131], v[98:99]
	v_mul_f64 v[130:131], v[116:117], s[36:37]
	v_add_f64 v[4:5], v[4:5], v[90:91]
	v_add_f64 v[52:53], v[6:7], v[52:53]
	v_fma_f64 v[6:7], v[110:111], s[22:23], -v[134:135]
	v_fma_f64 v[134:135], v[110:111], s[22:23], v[134:135]
	s_mov_b32 s19, 0x3fed1bb4
	v_fma_f64 v[138:139], v[112:113], s[26:27], v[108:109]
	v_fma_f64 v[108:109], v[112:113], s[26:27], -v[108:109]
	v_add_f64 v[4:5], v[4:5], v[94:95]
	v_add_f64 v[94:95], v[46:47], v[148:149]
	;; [unrolled: 1-line block ×4, first 2 shown]
	v_mul_f64 v[106:107], v[116:117], s[38:39]
	v_mul_f64 v[116:117], v[116:117], s[34:35]
	v_add_f64 v[108:109], v[108:109], v[124:125]
	v_fma_f64 v[124:125], v[110:111], s[10:11], v[130:131]
	v_add_f64 v[50:51], v[4:5], v[50:51]
	v_fma_f64 v[4:5], v[112:113], s[2:3], -v[132:133]
	v_mul_f64 v[132:133], v[114:115], s[24:25]
	v_add_f64 v[118:119], v[134:135], v[118:119]
	v_fma_f64 v[136:137], v[110:111], s[26:27], -v[106:107]
	v_fma_f64 v[106:107], v[110:111], s[26:27], v[106:107]
	v_add_f64 v[134:135], v[138:139], v[146:147]
	v_add_f64 v[124:125], v[124:125], v[126:127]
	v_fma_f64 v[126:127], v[110:111], s[20:21], -v[116:117]
	v_add_f64 v[4:5], v[4:5], v[104:105]
	v_fma_f64 v[104:105], v[112:113], s[22:23], v[132:133]
	v_fma_f64 v[132:133], v[112:113], s[22:23], -v[132:133]
	v_add_f64 v[6:7], v[6:7], v[140:141]
	v_add_f64 v[106:107], v[106:107], v[122:123]
	v_fma_f64 v[140:141], v[110:111], s[10:11], -v[130:131]
	v_add_f64 v[130:131], v[72:73], -v[92:93]
	v_add_f64 v[72:73], v[72:73], v[92:93]
	v_fma_f64 v[110:111], v[110:111], s[20:21], v[116:117]
	v_add_f64 v[104:105], v[104:105], v[142:143]
	v_mul_f64 v[142:143], v[114:115], s[36:37]
	v_mul_f64 v[114:115], v[114:115], s[34:35]
	v_add_f64 v[120:121], v[132:133], v[120:121]
	v_add_f64 v[132:133], v[136:137], v[144:145]
	;; [unrolled: 1-line block ×5, first 2 shown]
	v_fma_f64 v[122:123], v[112:113], s[10:11], v[142:143]
	v_fma_f64 v[138:139], v[112:113], s[20:21], v[114:115]
	v_fma_f64 v[136:137], v[112:113], s[10:11], -v[142:143]
	v_fma_f64 v[112:113], v[112:113], s[20:21], -v[114:115]
	v_add_f64 v[96:97], v[122:123], v[96:97]
	v_add_f64 v[122:123], v[54:55], -v[90:91]
	v_add_f64 v[126:127], v[138:139], v[150:151]
	v_add_f64 v[54:55], v[54:55], v[90:91]
	v_mul_f64 v[90:91], v[130:131], s[16:17]
	v_add_f64 v[0:1], v[112:113], v[0:1]
	v_add_f64 v[128:129], v[136:137], v[128:129]
	v_mul_f64 v[136:137], v[130:131], s[38:39]
	v_mul_f64 v[92:93], v[122:123], s[16:17]
	;; [unrolled: 1-line block ×3, first 2 shown]
	v_fma_f64 v[114:115], v[54:55], s[10:11], -v[90:91]
	v_fma_f64 v[90:91], v[54:55], s[10:11], v[90:91]
	v_fma_f64 v[110:111], v[54:55], s[26:27], -v[136:137]
	v_fma_f64 v[140:141], v[72:73], s[10:11], v[92:93]
	;; [unrolled: 2-line block ×3, first 2 shown]
	v_add_f64 v[46:47], v[114:115], v[46:47]
	v_add_f64 v[90:91], v[90:91], v[98:99]
	v_fma_f64 v[98:99], v[54:55], s[26:27], v[136:137]
	v_mul_f64 v[136:137], v[130:131], s[28:29]
	v_mul_f64 v[114:115], v[130:131], s[18:19]
	v_add_f64 v[6:7], v[110:111], v[6:7]
	v_add_f64 v[4:5], v[92:93], v[4:5]
	;; [unrolled: 1-line block ×3, first 2 shown]
	v_fma_f64 v[104:105], v[72:73], s[26:27], -v[138:139]
	v_mul_f64 v[138:139], v[122:123], s[28:29]
	v_add_f64 v[98:99], v[98:99], v[118:119]
	v_fma_f64 v[118:119], v[54:55], s[20:21], -v[136:137]
	v_fma_f64 v[110:111], v[54:55], s[2:3], -v[114:115]
	v_fma_f64 v[114:115], v[54:55], s[2:3], v[114:115]
	v_add_f64 v[48:49], v[140:141], v[48:49]
	v_mul_f64 v[140:141], v[122:123], s[18:19]
	v_add_f64 v[104:105], v[104:105], v[120:121]
	v_fma_f64 v[120:121], v[72:73], s[20:21], v[138:139]
	v_mul_f64 v[122:123], v[122:123], s[24:25]
	v_add_f64 v[94:95], v[118:119], v[94:95]
	v_add_f64 v[118:119], v[76:77], -v[88:89]
	v_add_f64 v[110:111], v[110:111], v[132:133]
	v_fma_f64 v[132:133], v[72:73], s[20:21], -v[138:139]
	v_add_f64 v[76:77], v[76:77], v[88:89]
	v_add_f64 v[106:107], v[114:115], v[106:107]
	;; [unrolled: 1-line block ×3, first 2 shown]
	v_add_f64 v[120:121], v[74:75], -v[86:87]
	v_mul_f64 v[114:115], v[130:131], s[24:25]
	v_fma_f64 v[130:131], v[54:55], s[20:21], v[136:137]
	v_add_f64 v[74:75], v[74:75], v[86:87]
	v_mul_f64 v[86:87], v[118:119], s[24:25]
	v_fma_f64 v[112:113], v[72:73], s[2:3], v[140:141]
	v_add_f64 v[128:129], v[132:133], v[128:129]
	v_fma_f64 v[140:141], v[72:73], s[2:3], -v[140:141]
	v_mul_f64 v[88:89], v[120:121], s[24:25]
	v_fma_f64 v[136:137], v[72:73], s[22:23], v[122:123]
	v_add_f64 v[124:125], v[130:131], v[124:125]
	v_fma_f64 v[72:73], v[72:73], s[22:23], -v[122:123]
	v_fma_f64 v[130:131], v[74:75], s[22:23], -v[86:87]
	v_fma_f64 v[86:87], v[74:75], s[22:23], v[86:87]
	v_add_f64 v[112:113], v[112:113], v[134:135]
	v_fma_f64 v[134:135], v[54:55], s[22:23], -v[114:115]
	v_fma_f64 v[132:133], v[76:77], s[22:23], v[88:89]
	v_fma_f64 v[88:89], v[76:77], s[22:23], -v[88:89]
	v_fma_f64 v[54:55], v[54:55], s[22:23], v[114:115]
	v_mul_f64 v[114:115], v[118:119], s[36:37]
	v_mul_f64 v[122:123], v[120:121], s[36:37]
	v_add_f64 v[86:87], v[86:87], v[90:91]
	v_mul_f64 v[90:91], v[120:121], s[28:29]
	v_add_f64 v[0:1], v[72:73], v[0:1]
	v_add_f64 v[46:47], v[130:131], v[46:47]
	;; [unrolled: 1-line block ×3, first 2 shown]
	v_mul_f64 v[88:89], v[118:119], s[28:29]
	v_add_f64 v[2:3], v[54:55], v[2:3]
	v_fma_f64 v[54:55], v[74:75], s[10:11], -v[114:115]
	v_fma_f64 v[72:73], v[76:77], s[10:11], v[122:123]
	v_add_f64 v[108:109], v[140:141], v[108:109]
	v_add_f64 v[48:49], v[132:133], v[48:49]
	v_fma_f64 v[122:123], v[76:77], s[10:11], -v[122:123]
	v_fma_f64 v[132:133], v[76:77], s[20:21], v[90:91]
	v_fma_f64 v[130:131], v[74:75], s[20:21], -v[88:89]
	v_fma_f64 v[88:89], v[74:75], s[20:21], v[88:89]
	v_fma_f64 v[90:91], v[76:77], s[20:21], -v[90:91]
	v_add_f64 v[6:7], v[54:55], v[6:7]
	v_add_f64 v[54:55], v[72:73], v[92:93]
	v_mul_f64 v[72:73], v[118:119], s[30:31]
	v_fma_f64 v[114:115], v[74:75], s[10:11], v[114:115]
	v_mul_f64 v[92:93], v[120:121], s[30:31]
	v_add_f64 v[104:105], v[122:123], v[104:105]
	v_add_f64 v[88:89], v[88:89], v[106:107]
	v_add_f64 v[106:107], v[80:81], -v[84:85]
	v_add_f64 v[122:123], v[132:133], v[112:113]
	v_add_f64 v[90:91], v[90:91], v[108:109]
	v_add_f64 v[108:109], v[78:79], -v[82:83]
	v_mul_f64 v[112:113], v[118:119], s[18:19]
	v_add_f64 v[116:117], v[134:135], v[116:117]
	v_fma_f64 v[134:135], v[74:75], s[26:27], -v[72:73]
	v_add_f64 v[98:99], v[114:115], v[98:99]
	v_mul_f64 v[114:115], v[120:121], s[18:19]
	v_fma_f64 v[72:73], v[74:75], s[26:27], v[72:73]
	v_add_f64 v[82:83], v[78:79], v[82:83]
	v_mul_f64 v[78:79], v[106:107], s[30:31]
	v_add_f64 v[126:127], v[136:137], v[126:127]
	v_fma_f64 v[136:137], v[76:77], s[26:27], v[92:93]
	v_fma_f64 v[92:93], v[76:77], s[26:27], -v[92:93]
	v_add_f64 v[80:81], v[80:81], v[84:85]
	v_mul_f64 v[84:85], v[108:109], s[30:31]
	v_fma_f64 v[118:119], v[74:75], s[2:3], -v[112:113]
	v_add_f64 v[110:111], v[130:131], v[110:111]
	v_fma_f64 v[120:121], v[76:77], s[2:3], v[114:115]
	v_add_f64 v[130:131], v[72:73], v[124:125]
	v_fma_f64 v[72:73], v[74:75], s[2:3], v[112:113]
	v_fma_f64 v[74:75], v[76:77], s[2:3], -v[114:115]
	v_fma_f64 v[76:77], v[82:83], s[26:27], -v[78:79]
	v_mul_f64 v[114:115], v[106:107], s[34:35]
	v_add_f64 v[92:93], v[92:93], v[128:129]
	v_fma_f64 v[112:113], v[80:81], s[26:27], v[84:85]
	v_add_f64 v[128:129], v[118:119], v[116:117]
	v_mul_f64 v[116:117], v[108:109], s[34:35]
	v_add_f64 v[132:133], v[120:121], v[126:127]
	v_add_f64 v[2:3], v[72:73], v[2:3]
	;; [unrolled: 1-line block ×4, first 2 shown]
	v_fma_f64 v[72:73], v[82:83], s[26:27], v[78:79]
	v_fma_f64 v[74:75], v[80:81], s[26:27], -v[84:85]
	v_fma_f64 v[76:77], v[82:83], s[20:21], -v[114:115]
	v_mul_f64 v[84:85], v[106:107], s[24:25]
	v_mul_f64 v[120:121], v[108:109], s[24:25]
	v_add_f64 v[48:49], v[112:113], v[48:49]
	v_fma_f64 v[78:79], v[80:81], s[20:21], v[116:117]
	v_fma_f64 v[112:113], v[82:83], s[20:21], v[114:115]
	v_fma_f64 v[114:115], v[80:81], s[20:21], -v[116:117]
	v_add_f64 v[116:117], v[72:73], v[86:87]
	v_add_f64 v[118:119], v[74:75], v[4:5]
	;; [unrolled: 1-line block ×3, first 2 shown]
	v_fma_f64 v[4:5], v[82:83], s[22:23], -v[84:85]
	v_fma_f64 v[6:7], v[80:81], s[22:23], v[120:121]
	v_add_f64 v[74:75], v[78:79], v[54:55]
	v_add_f64 v[112:113], v[112:113], v[98:99]
	v_fma_f64 v[54:55], v[82:83], s[22:23], v[84:85]
	v_fma_f64 v[84:85], v[80:81], s[22:23], -v[120:121]
	v_mul_f64 v[86:87], v[106:107], s[18:19]
	v_mul_f64 v[98:99], v[108:109], s[18:19]
	v_add_f64 v[76:77], v[4:5], v[110:111]
	v_add_f64 v[78:79], v[6:7], v[122:123]
	v_mul_f64 v[4:5], v[106:107], s[16:17]
	v_mul_f64 v[6:7], v[108:109], s[16:17]
	v_add_f64 v[94:95], v[134:135], v[94:95]
	v_add_f64 v[96:97], v[136:137], v[96:97]
	;; [unrolled: 1-line block ×4, first 2 shown]
	v_fma_f64 v[54:55], v[82:83], s[2:3], -v[86:87]
	v_fma_f64 v[84:85], v[80:81], s[2:3], v[98:99]
	v_fma_f64 v[86:87], v[82:83], s[2:3], v[86:87]
	v_fma_f64 v[88:89], v[80:81], s[2:3], -v[98:99]
	v_fma_f64 v[90:91], v[82:83], s[10:11], -v[4:5]
	v_fma_f64 v[98:99], v[80:81], s[10:11], v[6:7]
	v_fma_f64 v[6:7], v[80:81], s[10:11], -v[6:7]
	v_fma_f64 v[4:5], v[82:83], s[10:11], v[4:5]
	v_add_f64 v[80:81], v[54:55], v[94:95]
	v_add_f64 v[82:83], v[84:85], v[96:97]
	;; [unrolled: 1-line block ×7, first 2 shown]
	v_mul_u32_u24_e32 v0, 0xbb, v44
	v_add_f64 v[104:105], v[4:5], v[2:3]
	v_add_u32_sdwa v0, v0, v45 dst_sel:DWORD dst_unused:UNUSED_PAD src0_sel:DWORD src1_sel:BYTE_0
	v_add_f64 v[122:123], v[88:89], v[92:93]
	v_add_lshl_u32 v188, v188, v0, 4
	ds_write_b128 v188, v[50:53]
	ds_write_b128 v188, v[46:49] offset:272
	ds_write_b128 v188, v[72:75] offset:544
	;; [unrolled: 1-line block ×10, first 2 shown]
	s_waitcnt lgkmcnt(0)
	s_barrier
	ds_read_b128 v[108:111], v253
	ds_read_b128 v[144:147], v253 offset:2992
	ds_read_b128 v[140:143], v253 offset:5984
	;; [unrolled: 1-line block ×5, first 2 shown]
	s_movk_i32 s2, 0x55
	v_cmp_gt_u16_e64 s[2:3], s2, v255
	s_and_saveexec_b64 s[10:11], s[2:3]
	s_cbranch_execz .LBB0_9
; %bb.8:
	ds_read_b128 v[104:107], v253 offset:1632
	ds_read_b128 v[120:123], v253 offset:4624
	;; [unrolled: 1-line block ×6, first 2 shown]
.LBB0_9:
	s_or_b64 exec, exec, s[10:11]
	v_add_u32_e32 v0, 0x66, v255
	v_add_u32_e32 v1, 0xffffffab, v255
	v_cndmask_b32_e64 v0, v1, v0, s[2:3]
	v_mul_hi_i32_i24_e32 v1, 0x50, v0
	v_mul_i32_i24_e32 v0, 0x50, v0
	v_mov_b32_e32 v2, s9
	v_add_co_u32_e32 v0, vcc, s8, v0
	v_addc_co_u32_e32 v1, vcc, v2, v1, vcc
	global_load_dwordx4 v[18:21], v[0:1], off offset:2752
	global_load_dwordx4 v[26:29], v[0:1], off offset:2736
	v_mov_b32_e32 v2, s8
	s_movk_i32 s10, 0x50
	v_mov_b32_e32 v3, s9
	v_mad_u64_u32 v[2:3], s[8:9], v255, s10, v[2:3]
	global_load_dwordx4 v[22:25], v[0:1], off offset:2768
	global_load_dwordx4 v[48:51], v[0:1], off offset:2784
	;; [unrolled: 1-line block ×8, first 2 shown]
	s_mov_b32 s8, 0xe8584caa
	s_mov_b32 s9, 0x3febb67a
	;; [unrolled: 1-line block ×4, first 2 shown]
	s_waitcnt vmcnt(7) lgkmcnt(1)
	v_mul_f64 v[44:45], v[118:119], v[24:25]
	v_mul_f64 v[0:1], v[126:127], v[28:29]
	;; [unrolled: 1-line block ×6, first 2 shown]
	s_waitcnt vmcnt(6) lgkmcnt(0)
	v_mul_f64 v[148:149], v[102:103], v[50:51]
	v_mul_f64 v[150:151], v[100:101], v[50:51]
	v_fma_f64 v[44:45], v[116:117], v[22:23], -v[44:45]
	v_fma_f64 v[0:1], v[124:125], v[26:27], -v[0:1]
	buffer_store_dword v26, off, s[64:67], 0 offset:112 ; 4-byte Folded Spill
	s_nop 0
	buffer_store_dword v27, off, s[64:67], 0 offset:116 ; 4-byte Folded Spill
	buffer_store_dword v28, off, s[64:67], 0 offset:120 ; 4-byte Folded Spill
	;; [unrolled: 1-line block ×3, first 2 shown]
	v_fma_f64 v[4:5], v[112:113], v[18:19], -v[4:5]
	buffer_store_dword v18, off, s[64:67], 0 offset:80 ; 4-byte Folded Spill
	s_nop 0
	buffer_store_dword v19, off, s[64:67], 0 offset:84 ; 4-byte Folded Spill
	buffer_store_dword v20, off, s[64:67], 0 offset:88 ; 4-byte Folded Spill
	;; [unrolled: 1-line block ×4, first 2 shown]
	s_nop 0
	buffer_store_dword v23, off, s[64:67], 0 offset:100 ; 4-byte Folded Spill
	buffer_store_dword v24, off, s[64:67], 0 offset:104 ; 4-byte Folded Spill
	buffer_store_dword v25, off, s[64:67], 0 offset:108 ; 4-byte Folded Spill
	s_waitcnt vmcnt(12)
	v_mul_f64 v[172:173], v[122:123], v[54:55]
	v_mul_f64 v[174:175], v[120:121], v[54:55]
	;; [unrolled: 1-line block ×8, first 2 shown]
	v_fma_f64 v[120:121], v[120:121], v[52:53], -v[172:173]
	v_mul_f64 v[156:157], v[142:143], v[98:99]
	v_mul_f64 v[158:159], v[140:141], v[98:99]
	;; [unrolled: 1-line block ×4, first 2 shown]
	v_fma_f64 v[116:117], v[136:137], v[84:85], -v[160:161]
	v_fma_f64 v[128:129], v[128:129], v[88:89], -v[168:169]
	v_fma_f64 v[130:131], v[130:131], v[88:89], v[170:171]
	v_add_f64 v[136:137], v[104:105], v[0:1]
	v_fma_f64 v[112:113], v[140:141], v[96:97], -v[156:157]
	v_fma_f64 v[132:133], v[132:133], v[92:93], -v[164:165]
	v_fma_f64 v[134:135], v[134:135], v[92:93], v[166:167]
	v_fma_f64 v[2:3], v[126:127], v[26:27], v[2:3]
	;; [unrolled: 1-line block ×5, first 2 shown]
	v_fma_f64 v[118:119], v[100:101], v[48:49], -v[148:149]
	buffer_store_dword v48, off, s[64:67], 0 offset:128 ; 4-byte Folded Spill
	s_nop 0
	buffer_store_dword v49, off, s[64:67], 0 offset:132 ; 4-byte Folded Spill
	buffer_store_dword v50, off, s[64:67], 0 offset:136 ; 4-byte Folded Spill
	;; [unrolled: 1-line block ×4, first 2 shown]
	s_nop 0
	buffer_store_dword v53, off, s[64:67], 0 offset:148 ; 4-byte Folded Spill
	buffer_store_dword v54, off, s[64:67], 0 offset:152 ; 4-byte Folded Spill
	buffer_store_dword v55, off, s[64:67], 0 offset:156 ; 4-byte Folded Spill
	v_fma_f64 v[100:101], v[144:145], v[80:81], -v[152:153]
	v_fma_f64 v[114:115], v[142:143], v[96:97], v[158:159]
	v_add_f64 v[138:139], v[0:1], v[44:45]
	v_add_f64 v[142:143], v[106:107], v[2:3]
	v_add_f64 v[140:141], v[2:3], -v[46:47]
	v_add_f64 v[2:3], v[2:3], v[46:47]
	v_add_f64 v[144:145], v[4:5], v[118:119]
	;; [unrolled: 1-line block ×3, first 2 shown]
	v_add_f64 v[164:165], v[126:127], -v[130:131]
	v_add_f64 v[152:153], v[108:109], v[112:113]
	v_add_f64 v[156:157], v[114:115], -v[134:135]
	v_add_f64 v[158:159], v[110:111], v[114:115]
	v_add_f64 v[114:115], v[114:115], v[134:135]
	;; [unrolled: 1-line block ×3, first 2 shown]
	v_add_f64 v[116:117], v[116:117], -v[128:129]
	v_fma_f64 v[104:105], v[138:139], -0.5, v[104:105]
	v_fma_f64 v[2:3], v[2:3], -0.5, v[106:107]
	;; [unrolled: 1-line block ×4, first 2 shown]
	v_add_f64 v[0:1], v[0:1], -v[44:45]
	v_add_f64 v[44:45], v[136:137], v[44:45]
	v_add_f64 v[46:47], v[142:143], v[46:47]
	v_fma_f64 v[110:111], v[114:115], -0.5, v[110:111]
	v_fma_f64 v[138:139], v[140:141], s[8:9], v[104:105]
	v_fma_f64 v[142:143], v[140:141], s[10:11], v[104:105]
	v_add_f64 v[114:115], v[160:161], v[128:129]
	v_fma_f64 v[140:141], v[164:165], s[10:11], v[100:101]
	v_fma_f64 v[144:145], v[164:165], s[8:9], v[100:101]
	buffer_store_dword v254, off, s[64:67], 0 offset:72 ; 4-byte Folded Spill
	v_lshl_add_u32 v254, v255, 4, v254
	v_fma_f64 v[124:125], v[102:103], v[48:49], v[150:151]
	v_fma_f64 v[102:103], v[146:147], v[80:81], v[154:155]
	;; [unrolled: 1-line block ×3, first 2 shown]
	v_add_f64 v[150:151], v[4:5], -v[118:119]
	v_add_f64 v[154:155], v[112:113], v[132:133]
	v_add_f64 v[4:5], v[120:121], v[4:5]
	v_add_f64 v[112:113], v[112:113], -v[132:133]
	v_add_f64 v[148:149], v[6:7], v[124:125]
	v_add_f64 v[166:167], v[102:103], v[126:127]
	v_add_f64 v[126:127], v[126:127], v[130:131]
	v_add_f64 v[146:147], v[6:7], -v[124:125]
	v_add_f64 v[6:7], v[122:123], v[6:7]
	v_fma_f64 v[108:109], v[154:155], -0.5, v[108:109]
	v_fma_f64 v[120:121], v[148:149], -0.5, v[122:123]
	v_add_f64 v[122:123], v[152:153], v[132:133]
	v_fma_f64 v[102:103], v[126:127], -0.5, v[102:103]
	v_add_f64 v[132:133], v[158:159], v[134:135]
	v_add_f64 v[126:127], v[166:167], v[130:131]
	v_fma_f64 v[128:129], v[146:147], s[8:9], v[106:107]
	v_fma_f64 v[130:131], v[146:147], s[10:11], v[106:107]
	;; [unrolled: 1-line block ×10, first 2 shown]
	v_mul_f64 v[110:111], v[140:141], -0.5
	v_mul_f64 v[112:113], v[144:145], s[10:11]
	v_add_f64 v[100:101], v[122:123], v[114:115]
	v_mul_f64 v[108:109], v[120:121], s[8:9]
	v_mul_f64 v[154:155], v[116:117], -0.5
	v_add_f64 v[102:103], v[132:133], v[126:127]
	v_add_f64 v[104:105], v[122:123], -v[114:115]
	v_add_f64 v[106:107], v[132:133], -v[126:127]
	v_fma_f64 v[126:127], v[116:117], s[8:9], v[110:111]
	v_mul_f64 v[156:157], v[128:129], s[10:11]
	v_mul_f64 v[158:159], v[136:137], -0.5
	v_fma_f64 v[122:123], v[144:145], 0.5, v[108:109]
	v_fma_f64 v[140:141], v[140:141], s[10:11], v[154:155]
	v_mul_f64 v[144:145], v[134:135], s[8:9]
	v_mul_f64 v[154:155], v[130:131], -0.5
	v_fma_f64 v[132:133], v[120:121], 0.5, v[112:113]
	v_add_f64 v[112:113], v[148:149], v[126:127]
	v_add_f64 v[120:121], v[148:149], -v[126:127]
	v_add_f64 v[6:7], v[6:7], v[124:125]
	v_add_f64 v[108:109], v[146:147], v[122:123]
	v_add_f64 v[116:117], v[146:147], -v[122:123]
	v_fma_f64 v[146:147], v[0:1], s[10:11], v[2:3]
	v_fma_f64 v[0:1], v[0:1], s[8:9], v[2:3]
	v_add_f64 v[2:3], v[4:5], v[118:119]
	v_fma_f64 v[4:5], v[128:129], 0.5, v[144:145]
	v_fma_f64 v[144:145], v[136:137], s[8:9], v[154:155]
	v_fma_f64 v[148:149], v[134:135], 0.5, v[156:157]
	v_fma_f64 v[154:155], v[130:131], s[10:11], v[158:159]
	v_add_f64 v[110:111], v[150:151], v[132:133]
	v_add_f64 v[114:115], v[152:153], v[140:141]
	v_add_f64 v[118:119], v[150:151], -v[132:133]
	v_add_f64 v[122:123], v[152:153], -v[140:141]
	v_add_f64 v[124:125], v[44:45], v[2:3]
	v_add_f64 v[128:129], v[138:139], v[4:5]
	;; [unrolled: 1-line block ×6, first 2 shown]
	v_add_f64 v[136:137], v[44:45], -v[2:3]
	v_add_f64 v[140:141], v[138:139], -v[4:5]
	;; [unrolled: 1-line block ×6, first 2 shown]
	ds_write_b128 v254, v[100:103]
	ds_write_b128 v254, v[108:111] offset:2992
	ds_write_b128 v254, v[112:115] offset:5984
	;; [unrolled: 1-line block ×5, first 2 shown]
	s_and_saveexec_b64 s[8:9], s[2:3]
	s_cbranch_execz .LBB0_11
; %bb.10:
	ds_write_b128 v254, v[124:127] offset:1632
	ds_write_b128 v254, v[128:131] offset:4624
	;; [unrolled: 1-line block ×6, first 2 shown]
.LBB0_11:
	s_or_b64 exec, exec, s[8:9]
	s_waitcnt vmcnt(0) lgkmcnt(0)
	s_barrier
	s_and_saveexec_b64 s[8:9], s[0:1]
	s_cbranch_execz .LBB0_13
; %bb.12:
	v_lshlrev_b32_e32 v0, 4, v255
	v_add_co_u32_e32 v148, vcc, s12, v0
	v_mov_b32_e32 v0, s13
	v_addc_co_u32_e32 v149, vcc, 0, v0, vcc
	v_add_co_u32_e32 v0, vcc, 0x4620, v148
	v_addc_co_u32_e32 v1, vcc, 0, v149, vcc
	v_add_co_u32_e32 v2, vcc, 0x4000, v148
	v_addc_co_u32_e32 v3, vcc, 0, v149, vcc
	global_load_dwordx4 v[154:157], v[2:3], off offset:1568
	ds_read_b128 v[150:153], v254
	s_movk_i32 s10, 0x5000
	s_waitcnt vmcnt(0) lgkmcnt(0)
	v_mul_f64 v[2:3], v[152:153], v[156:157]
	v_fma_f64 v[158:159], v[150:151], v[154:155], -v[2:3]
	v_mul_f64 v[2:3], v[150:151], v[156:157]
	v_fma_f64 v[160:161], v[152:153], v[154:155], v[2:3]
	global_load_dwordx4 v[154:157], v[0:1], off offset:1056
	ds_read_b128 v[150:153], v254 offset:1056
	ds_write_b128 v254, v[158:161]
	s_waitcnt vmcnt(0) lgkmcnt(1)
	v_mul_f64 v[2:3], v[152:153], v[156:157]
	v_fma_f64 v[158:159], v[150:151], v[154:155], -v[2:3]
	v_mul_f64 v[2:3], v[150:151], v[156:157]
	v_fma_f64 v[160:161], v[152:153], v[154:155], v[2:3]
	global_load_dwordx4 v[154:157], v[0:1], off offset:2112
	ds_read_b128 v[150:153], v254 offset:2112
	ds_write_b128 v254, v[158:161] offset:1056
	s_waitcnt vmcnt(0) lgkmcnt(1)
	v_mul_f64 v[2:3], v[152:153], v[156:157]
	v_fma_f64 v[158:159], v[150:151], v[154:155], -v[2:3]
	v_mul_f64 v[2:3], v[150:151], v[156:157]
	v_fma_f64 v[160:161], v[152:153], v[154:155], v[2:3]
	global_load_dwordx4 v[154:157], v[0:1], off offset:3168
	ds_read_b128 v[150:153], v254 offset:3168
	ds_write_b128 v254, v[158:161] offset:2112
	s_waitcnt vmcnt(0) lgkmcnt(1)
	v_mul_f64 v[0:1], v[152:153], v[156:157]
	v_fma_f64 v[158:159], v[150:151], v[154:155], -v[0:1]
	v_mul_f64 v[0:1], v[150:151], v[156:157]
	v_fma_f64 v[160:161], v[152:153], v[154:155], v[0:1]
	v_add_co_u32_e32 v0, vcc, s10, v148
	v_addc_co_u32_e32 v1, vcc, 0, v149, vcc
	global_load_dwordx4 v[154:157], v[0:1], off offset:1696
	ds_read_b128 v[150:153], v254 offset:4224
	s_movk_i32 s10, 0x6000
	ds_write_b128 v254, v[158:161] offset:3168
	s_waitcnt vmcnt(0) lgkmcnt(1)
	v_mul_f64 v[2:3], v[152:153], v[156:157]
	v_fma_f64 v[158:159], v[150:151], v[154:155], -v[2:3]
	v_mul_f64 v[2:3], v[150:151], v[156:157]
	v_fma_f64 v[160:161], v[152:153], v[154:155], v[2:3]
	global_load_dwordx4 v[154:157], v[0:1], off offset:2752
	ds_read_b128 v[150:153], v254 offset:5280
	ds_write_b128 v254, v[158:161] offset:4224
	s_waitcnt vmcnt(0) lgkmcnt(1)
	v_mul_f64 v[2:3], v[152:153], v[156:157]
	v_fma_f64 v[158:159], v[150:151], v[154:155], -v[2:3]
	v_mul_f64 v[2:3], v[150:151], v[156:157]
	v_fma_f64 v[160:161], v[152:153], v[154:155], v[2:3]
	global_load_dwordx4 v[154:157], v[0:1], off offset:3808
	ds_read_b128 v[150:153], v254 offset:6336
	ds_write_b128 v254, v[158:161] offset:5280
	s_waitcnt vmcnt(0) lgkmcnt(1)
	v_mul_f64 v[0:1], v[152:153], v[156:157]
	v_fma_f64 v[158:159], v[150:151], v[154:155], -v[0:1]
	v_mul_f64 v[0:1], v[150:151], v[156:157]
	v_fma_f64 v[160:161], v[152:153], v[154:155], v[0:1]
	v_add_co_u32_e32 v0, vcc, s10, v148
	v_addc_co_u32_e32 v1, vcc, 0, v149, vcc
	global_load_dwordx4 v[154:157], v[0:1], off offset:768
	ds_read_b128 v[150:153], v254 offset:7392
	s_movk_i32 s10, 0x7000
	ds_write_b128 v254, v[158:161] offset:6336
	s_waitcnt vmcnt(0) lgkmcnt(1)
	v_mul_f64 v[2:3], v[152:153], v[156:157]
	v_fma_f64 v[158:159], v[150:151], v[154:155], -v[2:3]
	v_mul_f64 v[2:3], v[150:151], v[156:157]
	v_fma_f64 v[160:161], v[152:153], v[154:155], v[2:3]
	global_load_dwordx4 v[154:157], v[0:1], off offset:1824
	ds_read_b128 v[150:153], v254 offset:8448
	ds_write_b128 v254, v[158:161] offset:7392
	s_waitcnt vmcnt(0) lgkmcnt(1)
	v_mul_f64 v[2:3], v[152:153], v[156:157]
	v_fma_f64 v[158:159], v[150:151], v[154:155], -v[2:3]
	v_mul_f64 v[2:3], v[150:151], v[156:157]
	v_fma_f64 v[160:161], v[152:153], v[154:155], v[2:3]
	global_load_dwordx4 v[154:157], v[0:1], off offset:2880
	ds_read_b128 v[150:153], v254 offset:9504
	ds_write_b128 v254, v[158:161] offset:8448
	s_waitcnt vmcnt(0) lgkmcnt(1)
	v_mul_f64 v[2:3], v[152:153], v[156:157]
	v_fma_f64 v[158:159], v[150:151], v[154:155], -v[2:3]
	v_mul_f64 v[2:3], v[150:151], v[156:157]
	v_fma_f64 v[160:161], v[152:153], v[154:155], v[2:3]
	global_load_dwordx4 v[154:157], v[0:1], off offset:3936
	ds_read_b128 v[150:153], v254 offset:10560
	ds_write_b128 v254, v[158:161] offset:9504
	s_waitcnt vmcnt(0) lgkmcnt(1)
	v_mul_f64 v[0:1], v[152:153], v[156:157]
	v_fma_f64 v[158:159], v[150:151], v[154:155], -v[0:1]
	v_mul_f64 v[0:1], v[150:151], v[156:157]
	v_fma_f64 v[160:161], v[152:153], v[154:155], v[0:1]
	v_add_co_u32_e32 v0, vcc, s10, v148
	v_addc_co_u32_e32 v1, vcc, 0, v149, vcc
	global_load_dwordx4 v[154:157], v[0:1], off offset:896
	ds_read_b128 v[150:153], v254 offset:11616
	s_mov_b32 s10, 0x8000
	ds_write_b128 v254, v[158:161] offset:10560
	s_waitcnt vmcnt(0) lgkmcnt(1)
	v_mul_f64 v[2:3], v[152:153], v[156:157]
	v_fma_f64 v[158:159], v[150:151], v[154:155], -v[2:3]
	v_mul_f64 v[2:3], v[150:151], v[156:157]
	v_fma_f64 v[160:161], v[152:153], v[154:155], v[2:3]
	global_load_dwordx4 v[154:157], v[0:1], off offset:1952
	ds_read_b128 v[150:153], v254 offset:12672
	ds_write_b128 v254, v[158:161] offset:11616
	s_waitcnt vmcnt(0) lgkmcnt(1)
	v_mul_f64 v[2:3], v[152:153], v[156:157]
	v_fma_f64 v[158:159], v[150:151], v[154:155], -v[2:3]
	v_mul_f64 v[2:3], v[150:151], v[156:157]
	v_fma_f64 v[160:161], v[152:153], v[154:155], v[2:3]
	global_load_dwordx4 v[154:157], v[0:1], off offset:3008
	ds_read_b128 v[150:153], v254 offset:13728
	;; [unrolled: 8-line block ×3, first 2 shown]
	ds_write_b128 v254, v[158:161] offset:13728
	s_waitcnt vmcnt(0) lgkmcnt(1)
	v_mul_f64 v[0:1], v[152:153], v[156:157]
	v_fma_f64 v[158:159], v[150:151], v[154:155], -v[0:1]
	v_mul_f64 v[0:1], v[150:151], v[156:157]
	v_fma_f64 v[160:161], v[152:153], v[154:155], v[0:1]
	v_add_co_u32_e32 v0, vcc, s10, v148
	v_addc_co_u32_e32 v1, vcc, 0, v149, vcc
	global_load_dwordx4 v[154:157], v[0:1], off offset:1024
	ds_read_b128 v[150:153], v254 offset:15840
	ds_write_b128 v254, v[158:161] offset:14784
	s_waitcnt vmcnt(0) lgkmcnt(1)
	v_mul_f64 v[2:3], v[152:153], v[156:157]
	v_fma_f64 v[148:149], v[150:151], v[154:155], -v[2:3]
	v_mul_f64 v[2:3], v[150:151], v[156:157]
	v_fma_f64 v[150:151], v[152:153], v[154:155], v[2:3]
	global_load_dwordx4 v[152:155], v[0:1], off offset:2080
	ds_write_b128 v254, v[148:151] offset:15840
	ds_read_b128 v[148:151], v254 offset:16896
	s_waitcnt vmcnt(0) lgkmcnt(0)
	v_mul_f64 v[0:1], v[150:151], v[154:155]
	v_fma_f64 v[156:157], v[148:149], v[152:153], -v[0:1]
	v_mul_f64 v[0:1], v[148:149], v[154:155]
	v_fma_f64 v[158:159], v[150:151], v[152:153], v[0:1]
	ds_write_b128 v254, v[156:159] offset:16896
.LBB0_13:
	s_or_b64 exec, exec, s[8:9]
	s_waitcnt lgkmcnt(0)
	s_barrier
	s_and_saveexec_b64 s[8:9], s[0:1]
	s_cbranch_execz .LBB0_15
; %bb.14:
	ds_read_b128 v[100:103], v254
	ds_read_b128 v[108:111], v254 offset:1056
	ds_read_b128 v[112:115], v254 offset:2112
	;; [unrolled: 1-line block ×16, first 2 shown]
.LBB0_15:
	s_or_b64 exec, exec, s[8:9]
	s_waitcnt lgkmcnt(2)
	buffer_store_dword v235, off, s[64:67], 0 offset:160 ; 4-byte Folded Spill
	s_nop 0
	buffer_store_dword v236, off, s[64:67], 0 offset:164 ; 4-byte Folded Spill
	buffer_store_dword v237, off, s[64:67], 0 offset:168 ; 4-byte Folded Spill
	;; [unrolled: 1-line block ×3, first 2 shown]
	s_waitcnt lgkmcnt(0)
	v_add_f64 v[6:7], v[110:111], -v[16:17]
	s_mov_b32 s16, 0x6c9a05f6
	s_mov_b32 s17, 0xbfe9895b
	v_add_f64 v[189:190], v[108:109], v[14:15]
	v_add_f64 v[191:192], v[110:111], v[16:17]
	v_add_f64 v[12:13], v[114:115], -v[225:226]
	s_mov_b32 s8, 0x6ed5f1bb
	s_mov_b32 s42, 0x923c349f
	v_mul_f64 v[24:25], v[6:7], s[16:17]
	s_mov_b32 s9, 0xbfe348c8
	s_mov_b32 s43, 0x3feec746
	v_add_f64 v[211:212], v[108:109], -v[14:15]
	v_mul_f64 v[205:206], v[191:192], s[8:9]
	v_add_f64 v[195:196], v[112:113], v[223:224]
	v_add_f64 v[197:198], v[114:115], v[225:226]
	v_mul_f64 v[26:27], v[12:13], s[42:43]
	v_fma_f64 v[0:1], v[189:190], s[8:9], -v[24:25]
	s_mov_b32 s10, 0xc61f0d01
	s_mov_b32 s11, 0xbfd183b1
	v_add_f64 v[229:230], v[112:113], -v[223:224]
	v_fma_f64 v[2:3], v[211:212], s[16:17], v[205:206]
	s_mov_b32 s22, 0x5d8e7cdc
	v_mul_f64 v[164:165], v[197:198], s[10:11]
	v_fma_f64 v[4:5], v[195:196], s[10:11], -v[26:27]
	v_add_f64 v[0:1], v[100:101], v[0:1]
	s_mov_b32 s23, 0xbfd71e95
	s_mov_b32 s20, 0x370991
	;; [unrolled: 1-line block ×3, first 2 shown]
	v_add_f64 v[2:3], v[102:103], v[2:3]
	v_add_f64 v[28:29], v[118:119], -v[10:11]
	s_mov_b32 s24, 0x4363dd80
	s_mov_b32 s25, 0xbfe0d888
	v_add_f64 v[0:1], v[4:5], v[0:1]
	v_fma_f64 v[4:5], v[229:230], s[42:43], v[164:165]
	v_add_f64 v[207:208], v[116:117], v[8:9]
	v_add_f64 v[209:210], v[118:119], v[10:11]
	s_mov_b32 s18, 0x910ea3b9
	v_mul_f64 v[168:169], v[28:29], s[24:25]
	v_mov_b32_e32 v18, v223
	s_mov_b32 s19, 0xbfeb34fa
	v_mov_b32_e32 v19, v224
	v_add_f64 v[2:3], v[4:5], v[2:3]
	v_mov_b32_e32 v20, v225
	v_mov_b32_e32 v21, v226
	v_add_f64 v[225:226], v[116:117], -v[8:9]
	v_mul_f64 v[170:171], v[209:210], s[18:19]
	v_add_f64 v[227:228], v[122:123], -v[241:242]
	s_mov_b32 s56, 0xeb564b22
	s_mov_b32 s57, 0x3fefdd0d
	v_add_f64 v[213:214], v[120:121], v[239:240]
	v_add_f64 v[215:216], v[122:123], v[241:242]
	s_mov_b32 s26, 0x3259b75e
	s_mov_b32 s27, 0x3fb79ee6
	s_mov_b32 s36, 0x2a9d6da3
	v_mul_f64 v[172:173], v[227:228], s[56:57]
	s_mov_b32 s37, 0xbfe58eea
	v_add_f64 v[221:222], v[124:125], v[144:145]
	v_add_f64 v[223:224], v[126:127], v[146:147]
	v_mul_f64 v[174:175], v[215:216], s[26:27]
	s_mov_b32 s34, 0x75d4884
	s_mov_b32 s35, 0x3fe7a5f6
	v_add_f64 v[243:244], v[124:125], -v[144:145]
	v_add_f64 v[245:246], v[130:131], -v[142:143]
	s_mov_b32 s38, 0xacd6c6b4
	s_mov_b32 s39, 0xbfc7851a
	v_mul_f64 v[178:179], v[223:224], s[34:35]
	v_add_f64 v[231:232], v[128:129], v[140:141]
	v_add_f64 v[233:234], v[130:131], v[142:143]
	s_mov_b32 s30, 0x7faef3
	s_mov_b32 s31, 0xbfef7484
	v_mul_f64 v[180:181], v[245:246], s[38:39]
	v_add_f64 v[247:248], v[128:129], -v[140:141]
	v_add_f64 v[251:252], v[134:135], -v[138:139]
	s_mov_b32 s46, 0x7c9e640b
	v_mov_b32_e32 v44, v239
	v_mul_f64 v[182:183], v[233:234], s[30:31]
	v_add_f64 v[22:23], v[106:107], -v[237:238]
	v_add_f64 v[201:202], v[104:105], v[235:236]
	v_add_f64 v[203:204], v[106:107], v[237:238]
	v_add_f64 v[219:220], v[104:105], -v[235:236]
	v_add_f64 v[235:236], v[120:121], -v[239:240]
	;; [unrolled: 1-line block ×3, first 2 shown]
	s_mov_b32 s47, 0x3feca52d
	v_mov_b32_e32 v45, v240
	v_mul_f64 v[32:33], v[22:23], s[22:23]
	v_mov_b32_e32 v46, v241
	v_mul_f64 v[166:167], v[203:204], s[20:21]
	v_mov_b32_e32 v47, v242
	v_add_f64 v[239:240], v[132:133], v[136:137]
	v_mul_f64 v[176:177], v[237:238], s[36:37]
	v_add_f64 v[241:242], v[134:135], v[138:139]
	v_mul_f64 v[184:185], v[251:252], s[46:47]
	v_fma_f64 v[4:5], v[201:202], s[20:21], -v[32:33]
	s_mov_b32 s40, 0x2b2883cd
	s_mov_b32 s41, 0x3fdc86fa
	v_add_f64 v[249:250], v[132:133], -v[136:137]
	s_waitcnt vmcnt(0)
	s_barrier
	v_mul_f64 v[186:187], v[241:242], s[40:41]
	v_add_f64 v[0:1], v[4:5], v[0:1]
	v_fma_f64 v[4:5], v[219:220], s[22:23], v[166:167]
	v_add_f64 v[2:3], v[4:5], v[2:3]
	v_fma_f64 v[4:5], v[207:208], s[18:19], -v[168:169]
	v_add_f64 v[0:1], v[4:5], v[0:1]
	v_fma_f64 v[4:5], v[225:226], s[24:25], v[170:171]
	v_add_f64 v[2:3], v[4:5], v[2:3]
	v_fma_f64 v[4:5], v[213:214], s[26:27], -v[172:173]
	;; [unrolled: 4-line block ×5, first 2 shown]
	v_add_f64 v[148:149], v[4:5], v[0:1]
	v_fma_f64 v[0:1], v[249:250], s[46:47], v[186:187]
	v_add_f64 v[150:151], v[0:1], v[2:3]
	s_and_saveexec_b64 s[28:29], s[0:1]
	s_cbranch_execz .LBB0_17
; %bb.16:
	v_mul_f64 v[0:1], v[189:190], s[8:9]
	v_mul_f64 v[2:3], v[225:226], s[24:25]
	;; [unrolled: 1-line block ×3, first 2 shown]
	s_mov_b32 s51, 0x3fd71e95
	s_mov_b32 s50, s22
	v_mul_f64 v[4:5], v[213:214], s[26:27]
	v_mov_b32_e32 v35, v13
	v_mul_f64 v[52:53], v[219:220], s[24:25]
	buffer_store_dword v0, off, s[64:67], 0 offset:272 ; 4-byte Folded Spill
	s_nop 0
	buffer_store_dword v1, off, s[64:67], 0 offset:276 ; 4-byte Folded Spill
	v_mul_f64 v[0:1], v[195:196], s[10:11]
	v_mov_b32_e32 v34, v12
	s_mov_b32 s53, 0x3fe58eea
	s_mov_b32 s52, s36
	v_mul_f64 v[72:73], v[225:226], s[52:53]
	s_mov_b32 s45, 0xbfeec746
	v_fma_f64 v[74:75], v[203:204], s[18:19], v[52:53]
	s_mov_b32 s44, s42
	buffer_store_dword v0, off, s[64:67], 0 offset:256 ; 4-byte Folded Spill
	s_nop 0
	buffer_store_dword v1, off, s[64:67], 0 offset:260 ; 4-byte Folded Spill
	v_mul_f64 v[0:1], v[201:202], s[20:21]
	buffer_store_dword v44, off, s[64:67], 0 offset:176 ; 4-byte Folded Spill
	s_nop 0
	buffer_store_dword v45, off, s[64:67], 0 offset:180 ; 4-byte Folded Spill
	buffer_store_dword v46, off, s[64:67], 0 offset:184 ; 4-byte Folded Spill
	;; [unrolled: 1-line block ×3, first 2 shown]
	v_mul_f64 v[44:45], v[211:212], s[38:39]
	v_fma_f64 v[78:79], v[209:210], s[34:35], v[72:73]
	v_fma_f64 v[52:53], v[203:204], s[18:19], -v[52:53]
	v_fma_f64 v[72:73], v[209:210], s[34:35], -v[72:73]
	v_mov_b32_e32 v31, v27
	v_mov_b32_e32 v30, v26
	buffer_store_dword v0, off, s[64:67], 0 offset:288 ; 4-byte Folded Spill
	s_nop 0
	buffer_store_dword v1, off, s[64:67], 0 offset:292 ; 4-byte Folded Spill
	v_mul_f64 v[0:1], v[219:220], s[22:23]
	v_fma_f64 v[48:49], v[191:192], s[30:31], v[44:45]
	v_fma_f64 v[44:45], v[191:192], s[30:31], -v[44:45]
	s_mov_b32 s49, 0xbfefdd0d
	s_mov_b32 s48, s56
	v_mul_f64 v[158:159], v[211:212], s[16:17]
	v_mul_f64 v[162:163], v[229:230], s[42:43]
	s_mov_b32 s61, 0x3fe9895b
	buffer_store_dword v0, off, s[64:67], 0 offset:304 ; 4-byte Folded Spill
	s_nop 0
	buffer_store_dword v1, off, s[64:67], 0 offset:308 ; 4-byte Folded Spill
	v_mul_f64 v[0:1], v[207:208], s[18:19]
	v_add_f64 v[48:49], v[102:103], v[48:49]
	v_add_f64 v[44:45], v[102:103], v[44:45]
	s_mov_b32 s60, s16
	v_add_f64 v[205:206], v[205:206], -v[158:159]
	v_mul_f64 v[193:194], v[225:226], s[60:61]
	v_add_f64 v[164:165], v[164:165], -v[162:163]
	v_mul_f64 v[217:218], v[251:252], s[44:45]
	buffer_store_dword v0, off, s[64:67], 0 offset:312 ; 4-byte Folded Spill
	s_nop 0
	buffer_store_dword v1, off, s[64:67], 0 offset:316 ; 4-byte Folded Spill
	buffer_store_dword v2, off, s[64:67], 0 offset:328 ; 4-byte Folded Spill
	s_nop 0
	buffer_store_dword v3, off, s[64:67], 0 offset:332 ; 4-byte Folded Spill
	;; [unrolled: 3-line block ×3, first 2 shown]
	buffer_store_dword v10, off, s[64:67], 0 offset:216 ; 4-byte Folded Spill
	buffer_store_dword v11, off, s[64:67], 0 offset:220 ; 4-byte Folded Spill
	v_mul_f64 v[0:1], v[229:230], s[50:51]
	v_mul_f64 v[2:3], v[12:13], s[50:51]
	v_fma_f64 v[8:9], v[189:190], s[30:31], -v[154:155]
	buffer_store_dword v4, off, s[64:67], 0 offset:320 ; 4-byte Folded Spill
	s_nop 0
	buffer_store_dword v5, off, s[64:67], 0 offset:324 ; 4-byte Folded Spill
	buffer_store_dword v14, off, s[64:67], 0 offset:192 ; 4-byte Folded Spill
	s_nop 0
	buffer_store_dword v15, off, s[64:67], 0 offset:196 ; 4-byte Folded Spill
	buffer_store_dword v16, off, s[64:67], 0 offset:200 ; 4-byte Folded Spill
	;; [unrolled: 1-line block ×3, first 2 shown]
	v_mul_f64 v[12:13], v[22:23], s[24:25]
	buffer_store_dword v18, off, s[64:67], 0 offset:224 ; 4-byte Folded Spill
	s_nop 0
	buffer_store_dword v19, off, s[64:67], 0 offset:228 ; 4-byte Folded Spill
	buffer_store_dword v20, off, s[64:67], 0 offset:232 ; 4-byte Folded Spill
	;; [unrolled: 1-line block ×3, first 2 shown]
	v_mul_f64 v[18:19], v[243:244], s[46:47]
	v_fma_f64 v[54:55], v[197:198], s[20:21], v[0:1]
	v_fma_f64 v[14:15], v[195:196], s[20:21], -v[2:3]
	v_add_f64 v[8:9], v[100:101], v[8:9]
	v_fma_f64 v[0:1], v[197:198], s[20:21], -v[0:1]
	v_mul_f64 v[4:5], v[251:252], s[56:57]
	v_fma_f64 v[76:77], v[201:202], s[18:19], -v[12:13]
	v_mov_b32_e32 v20, v24
	v_mov_b32_e32 v21, v25
	v_add_f64 v[48:49], v[54:55], v[48:49]
	v_mul_f64 v[54:55], v[28:29], s[52:53]
	v_add_f64 v[8:9], v[14:15], v[8:9]
	v_mul_f64 v[14:15], v[235:236], s[16:17]
	v_add_f64 v[0:1], v[0:1], v[44:45]
	v_fma_f64 v[44:45], v[223:224], s[40:41], v[18:19]
	v_mov_b32_e32 v11, v7
	v_mov_b32_e32 v10, v6
	v_add_f64 v[48:49], v[74:75], v[48:49]
	v_mul_f64 v[74:75], v[227:228], s[16:17]
	v_fma_f64 v[16:17], v[207:208], s[34:35], -v[54:55]
	v_add_f64 v[8:9], v[76:77], v[8:9]
	v_fma_f64 v[76:77], v[215:216], s[8:9], v[14:15]
	v_add_f64 v[0:1], v[52:53], v[0:1]
	buffer_store_dword v10, off, s[64:67], 0 offset:336 ; 4-byte Folded Spill
	s_nop 0
	buffer_store_dword v11, off, s[64:67], 0 offset:340 ; 4-byte Folded Spill
	v_fma_f64 v[14:15], v[215:216], s[8:9], -v[14:15]
	v_add_f64 v[48:49], v[78:79], v[48:49]
	v_mul_f64 v[78:79], v[237:238], s[46:47]
	v_fma_f64 v[156:157], v[213:214], s[8:9], -v[74:75]
	v_add_f64 v[8:9], v[16:17], v[8:9]
	v_mul_f64 v[16:17], v[247:248], s[44:45]
	v_add_f64 v[0:1], v[72:73], v[0:1]
	v_fma_f64 v[18:19], v[223:224], s[40:41], -v[18:19]
	v_mul_f64 v[6:7], v[211:212], s[24:25]
	v_add_f64 v[48:49], v[76:77], v[48:49]
	v_mul_f64 v[76:77], v[245:246], s[44:45]
	v_fma_f64 v[152:153], v[221:222], s[40:41], -v[78:79]
	v_add_f64 v[8:9], v[156:157], v[8:9]
	v_mul_f64 v[156:157], v[249:250], s[56:57]
	v_fma_f64 v[52:53], v[233:234], s[10:11], v[16:17]
	v_add_f64 v[0:1], v[14:15], v[0:1]
	v_fma_f64 v[16:17], v[233:234], s[10:11], -v[16:17]
	v_add_f64 v[44:45], v[44:45], v[48:49]
	v_fma_f64 v[46:47], v[231:232], s[10:11], -v[76:77]
	v_fma_f64 v[154:155], v[189:190], s[30:31], v[154:155]
	v_add_f64 v[8:9], v[152:153], v[8:9]
	v_fma_f64 v[72:73], v[241:242], s[26:27], v[156:157]
	v_fma_f64 v[152:153], v[239:240], s[26:27], -v[4:5]
	v_add_f64 v[0:1], v[18:19], v[0:1]
	v_fma_f64 v[156:157], v[241:242], s[26:27], -v[156:157]
	v_add_f64 v[44:45], v[52:53], v[44:45]
	v_mul_f64 v[14:15], v[229:230], s[46:47]
	v_fma_f64 v[2:3], v[195:196], s[20:21], v[2:3]
	v_add_f64 v[8:9], v[46:47], v[8:9]
	v_add_f64 v[46:47], v[100:101], v[154:155]
	v_mul_f64 v[154:155], v[219:220], s[48:49]
	v_add_f64 v[0:1], v[16:17], v[0:1]
	v_fma_f64 v[12:13], v[201:202], s[18:19], v[12:13]
	v_add_f64 v[26:27], v[72:73], v[44:45]
	v_fma_f64 v[44:45], v[191:192], s[18:19], v[6:7]
	v_fma_f64 v[6:7], v[191:192], s[18:19], -v[6:7]
	v_add_f64 v[24:25], v[152:153], v[8:9]
	v_add_f64 v[2:3], v[2:3], v[46:47]
	v_fma_f64 v[199:200], v[203:204], s[26:27], v[154:155]
	buffer_store_dword v24, off, s[64:67], 0 offset:240 ; 4-byte Folded Spill
	s_nop 0
	buffer_store_dword v25, off, s[64:67], 0 offset:244 ; 4-byte Folded Spill
	buffer_store_dword v26, off, s[64:67], 0 offset:248 ; 4-byte Folded Spill
	;; [unrolled: 1-line block ×3, first 2 shown]
	buffer_load_dword v24, off, s[64:67], 0 offset:272 ; 4-byte Folded Reload
	s_nop 0
	buffer_load_dword v25, off, s[64:67], 0 offset:276 ; 4-byte Folded Reload
	v_add_f64 v[26:27], v[156:157], v[0:1]
	v_add_f64 v[6:7], v[102:103], v[6:7]
	v_fma_f64 v[154:155], v[203:204], s[26:27], -v[154:155]
	v_add_f64 v[44:45], v[102:103], v[44:45]
	v_mul_f64 v[46:47], v[34:35], s[46:47]
	v_fma_f64 v[0:1], v[239:240], s[26:27], v[4:5]
	v_add_f64 v[4:5], v[102:103], v[205:206]
	v_fma_f64 v[8:9], v[207:208], s[34:35], v[54:55]
	v_add_f64 v[2:3], v[12:13], v[2:3]
	v_mul_f64 v[12:13], v[235:236], s[22:23]
	v_fma_f64 v[18:19], v[221:222], s[40:41], v[78:79]
	v_fma_f64 v[54:55], v[209:210], s[8:9], v[193:194]
	v_fma_f64 v[160:161], v[195:196], s[40:41], -v[46:47]
	v_fma_f64 v[46:47], v[195:196], s[40:41], v[46:47]
	v_add_f64 v[4:5], v[164:165], v[4:5]
	v_fma_f64 v[164:165], v[209:210], s[8:9], -v[193:194]
	v_add_f64 v[2:3], v[8:9], v[2:3]
	v_mul_f64 v[8:9], v[243:244], s[38:39]
	v_fma_f64 v[74:75], v[213:214], s[8:9], v[74:75]
	v_mul_f64 v[48:49], v[235:236], s[56:57]
	v_mul_f64 v[52:53], v[221:222], s[34:35]
	v_fma_f64 v[76:77], v[231:232], s[10:11], v[76:77]
	v_mul_f64 v[16:17], v[231:232], s[30:31]
	v_mul_f64 v[162:163], v[249:250], s[46:47]
	s_mov_b32 s59, 0x3fe0d888
	v_fma_f64 v[78:79], v[223:224], s[30:31], v[8:9]
	v_fma_f64 v[8:9], v[223:224], s[30:31], -v[8:9]
	v_add_f64 v[2:3], v[74:75], v[2:3]
	v_mul_f64 v[74:75], v[247:248], s[52:53]
	v_add_f64 v[48:49], v[174:175], -v[48:49]
	v_add_f64 v[52:53], v[52:53], v[176:177]
	s_mov_b32 s58, s24
	v_mul_f64 v[72:73], v[10:11], s[24:25]
	v_fma_f64 v[10:11], v[197:198], s[40:41], v[14:15]
	v_fma_f64 v[14:15], v[197:198], s[40:41], -v[14:15]
	v_add_f64 v[2:3], v[18:19], v[2:3]
	v_fma_f64 v[18:19], v[233:234], s[34:35], v[74:75]
	s_mov_b32 s55, 0xbfeca52d
	s_mov_b32 s54, s46
	v_mul_f64 v[193:194], v[251:252], s[24:25]
	v_fma_f64 v[50:51], v[189:190], s[18:19], -v[72:73]
	v_fma_f64 v[72:73], v[189:190], s[18:19], v[72:73]
	v_add_f64 v[6:7], v[14:15], v[6:7]
	v_add_f64 v[10:11], v[10:11], v[44:45]
	v_mul_f64 v[44:45], v[22:23], s[48:49]
	v_mul_f64 v[14:15], v[249:250], s[44:45]
	v_add_f64 v[2:3], v[76:77], v[2:3]
	v_mul_f64 v[76:77], v[247:248], s[38:39]
	v_add_f64 v[50:51], v[100:101], v[50:51]
	v_add_f64 v[72:73], v[100:101], v[72:73]
	;; [unrolled: 1-line block ×4, first 2 shown]
	v_fma_f64 v[152:153], v[201:202], s[26:27], -v[44:45]
	v_fma_f64 v[44:45], v[201:202], s[26:27], v[44:45]
	v_fma_f64 v[199:200], v[215:216], s[20:21], v[12:13]
	v_fma_f64 v[12:13], v[215:216], s[20:21], -v[12:13]
	v_add_f64 v[50:51], v[160:161], v[50:51]
	v_add_f64 v[46:47], v[46:47], v[72:73]
	;; [unrolled: 1-line block ×3, first 2 shown]
	v_mul_f64 v[160:161], v[28:29], s[60:61]
	v_add_f64 v[10:11], v[54:55], v[10:11]
	v_mul_f64 v[54:55], v[227:228], s[22:23]
	v_fma_f64 v[205:206], v[241:242], s[10:11], v[14:15]
	v_fma_f64 v[72:73], v[239:240], s[10:11], -v[217:218]
	v_add_f64 v[50:51], v[152:153], v[50:51]
	v_add_f64 v[44:45], v[44:45], v[46:47]
	;; [unrolled: 1-line block ×3, first 2 shown]
	v_fma_f64 v[152:153], v[207:208], s[8:9], -v[160:161]
	v_add_f64 v[10:11], v[199:200], v[10:11]
	v_fma_f64 v[199:200], v[213:214], s[20:21], -v[54:55]
	v_fma_f64 v[160:161], v[207:208], s[8:9], v[160:161]
	v_fma_f64 v[54:55], v[213:214], s[20:21], v[54:55]
	v_fma_f64 v[14:15], v[241:242], s[10:11], -v[14:15]
	v_add_f64 v[6:7], v[8:9], v[6:7]
	v_add_f64 v[50:51], v[152:153], v[50:51]
	v_mul_f64 v[152:153], v[237:238], s[38:39]
	v_add_f64 v[10:11], v[78:79], v[10:11]
	v_add_f64 v[44:45], v[160:161], v[44:45]
	s_waitcnt vmcnt(0)
	v_add_f64 v[156:157], v[24:25], v[20:21]
	buffer_load_dword v20, off, s[64:67], 0 offset:304 ; 4-byte Folded Reload
	buffer_load_dword v21, off, s[64:67], 0 offset:308 ; 4-byte Folded Reload
	v_add_f64 v[24:25], v[0:1], v[2:3]
	v_mul_f64 v[78:79], v[243:244], s[36:37]
	v_add_f64 v[50:51], v[199:200], v[50:51]
	v_fma_f64 v[199:200], v[221:222], s[30:31], -v[152:153]
	v_add_f64 v[10:11], v[18:19], v[10:11]
	v_mul_f64 v[18:19], v[245:246], s[52:53]
	v_add_f64 v[156:157], v[100:101], v[156:157]
	v_fma_f64 v[152:153], v[221:222], s[30:31], v[152:153]
	v_add_f64 v[44:45], v[54:55], v[44:45]
	v_add_f64 v[54:55], v[178:179], -v[78:79]
	v_add_f64 v[0:1], v[16:17], v[180:181]
	v_add_f64 v[50:51], v[199:200], v[50:51]
	;; [unrolled: 1-line block ×3, first 2 shown]
	v_fma_f64 v[158:159], v[231:232], s[34:35], -v[18:19]
	v_fma_f64 v[18:19], v[231:232], s[34:35], v[18:19]
	v_mul_f64 v[199:200], v[239:240], s[40:41]
	v_add_f64 v[44:45], v[152:153], v[44:45]
	v_mov_b32_e32 v161, v23
	v_mov_b32_e32 v160, v22
	v_add_f64 v[158:159], v[158:159], v[50:51]
	v_add_f64 v[18:19], v[18:19], v[44:45]
	v_add_f64 v[44:45], v[186:187], -v[162:163]
	v_mov_b32_e32 v163, v29
	v_mov_b32_e32 v162, v28
	s_waitcnt vmcnt(0)
	v_add_f64 v[166:167], v[166:167], -v[20:21]
	buffer_load_dword v20, off, s[64:67], 0 offset:256 ; 4-byte Folded Reload
	buffer_load_dword v21, off, s[64:67], 0 offset:260 ; 4-byte Folded Reload
	v_add_f64 v[4:5], v[166:167], v[4:5]
	s_waitcnt vmcnt(0)
	v_add_f64 v[154:155], v[20:21], v[30:31]
	buffer_load_dword v20, off, s[64:67], 0 offset:328 ; 4-byte Folded Reload
	buffer_load_dword v21, off, s[64:67], 0 offset:332 ; 4-byte Folded Reload
	v_add_f64 v[154:155], v[154:155], v[156:157]
	s_waitcnt vmcnt(0)
	v_add_f64 v[46:47], v[170:171], -v[20:21]
	buffer_load_dword v20, off, s[64:67], 0 offset:288 ; 4-byte Folded Reload
	buffer_load_dword v21, off, s[64:67], 0 offset:292 ; 4-byte Folded Reload
	;; [unrolled: 1-line block ×6, first 2 shown]
	s_nop 0
	buffer_store_dword v24, off, s[64:67], 0 offset:272 ; 4-byte Folded Spill
	s_nop 0
	buffer_store_dword v25, off, s[64:67], 0 offset:276 ; 4-byte Folded Spill
	buffer_store_dword v26, off, s[64:67], 0 offset:280 ; 4-byte Folded Spill
	;; [unrolled: 1-line block ×3, first 2 shown]
	v_add_f64 v[4:5], v[46:47], v[4:5]
	v_add_f64 v[4:5], v[48:49], v[4:5]
	v_fma_f64 v[48:49], v[233:234], s[34:35], -v[74:75]
	v_mul_f64 v[74:75], v[225:226], s[54:55]
	v_add_f64 v[4:5], v[54:55], v[4:5]
	v_add_f64 v[6:7], v[48:49], v[6:7]
	v_mul_f64 v[54:55], v[22:23], s[52:53]
	v_fma_f64 v[152:153], v[209:210], s[40:41], v[74:75]
	v_fma_f64 v[74:75], v[209:210], s[40:41], -v[74:75]
	v_fma_f64 v[78:79], v[201:202], s[34:35], -v[54:55]
	v_fma_f64 v[54:55], v[201:202], s[34:35], v[54:55]
	s_waitcnt vmcnt(8)
	v_add_f64 v[164:165], v[20:21], v[32:33]
	s_waitcnt vmcnt(6)
	v_add_f64 v[12:13], v[12:13], v[168:169]
	s_waitcnt vmcnt(4)
	v_add_f64 v[8:9], v[8:9], v[172:173]
	v_add_f64 v[46:47], v[164:165], v[154:155]
	v_mov_b32_e32 v165, v35
	v_mov_b32_e32 v164, v34
	v_add_f64 v[12:13], v[12:13], v[46:47]
	v_add_f64 v[46:47], v[182:183], -v[76:77]
	v_add_f64 v[8:9], v[8:9], v[12:13]
	v_fma_f64 v[12:13], v[239:240], s[10:11], v[217:218]
	v_add_f64 v[4:5], v[46:47], v[4:5]
	v_mul_f64 v[46:47], v[219:220], s[52:53]
	v_mul_f64 v[217:218], v[28:29], s[38:39]
	v_add_f64 v[2:3], v[52:53], v[8:9]
	v_add_f64 v[8:9], v[72:73], v[158:159]
	buffer_store_dword v8, off, s[64:67], 0 offset:256 ; 4-byte Folded Spill
	s_nop 0
	buffer_store_dword v9, off, s[64:67], 0 offset:260 ; 4-byte Folded Spill
	buffer_store_dword v10, off, s[64:67], 0 offset:264 ; 4-byte Folded Spill
	;; [unrolled: 1-line block ×3, first 2 shown]
	v_add_f64 v[8:9], v[14:15], v[6:7]
	v_add_f64 v[6:7], v[12:13], v[18:19]
	buffer_store_dword v6, off, s[64:67], 0 offset:288 ; 4-byte Folded Spill
	s_nop 0
	buffer_store_dword v7, off, s[64:67], 0 offset:292 ; 4-byte Folded Spill
	buffer_store_dword v8, off, s[64:67], 0 offset:296 ; 4-byte Folded Spill
	;; [unrolled: 1-line block ×3, first 2 shown]
	buffer_load_dword v20, off, s[64:67], 0 offset:336 ; 4-byte Folded Reload
	buffer_load_dword v21, off, s[64:67], 0 offset:340 ; 4-byte Folded Reload
	v_mul_f64 v[8:9], v[211:212], s[44:45]
	v_mul_f64 v[12:13], v[229:230], s[58:59]
	v_add_f64 v[170:171], v[44:45], v[4:5]
	v_mul_f64 v[18:19], v[164:165], s[58:59]
	v_fma_f64 v[76:77], v[203:204], s[34:35], v[46:47]
	v_fma_f64 v[46:47], v[203:204], s[34:35], -v[46:47]
	v_mul_f64 v[6:7], v[247:248], s[22:23]
	v_add_f64 v[4:5], v[199:200], v[184:185]
	v_fma_f64 v[16:17], v[191:192], s[10:11], v[8:9]
	v_fma_f64 v[8:9], v[191:192], s[10:11], -v[8:9]
	v_fma_f64 v[52:53], v[197:198], s[18:19], v[12:13]
	v_fma_f64 v[12:13], v[197:198], s[18:19], -v[12:13]
	v_fma_f64 v[72:73], v[195:196], s[18:19], -v[18:19]
	v_fma_f64 v[18:19], v[195:196], s[18:19], v[18:19]
	v_add_f64 v[0:1], v[0:1], v[2:3]
	v_mul_f64 v[2:3], v[249:250], s[16:17]
	v_add_f64 v[16:17], v[102:103], v[16:17]
	v_add_f64 v[8:9], v[102:103], v[8:9]
	v_fma_f64 v[14:15], v[233:234], s[20:21], v[6:7]
	v_fma_f64 v[6:7], v[233:234], s[20:21], -v[6:7]
	buffer_load_dword v48, off, s[64:67], 0 offset:160 ; 4-byte Folded Reload
	buffer_load_dword v49, off, s[64:67], 0 offset:164 ; 4-byte Folded Reload
	;; [unrolled: 1-line block ×4, first 2 shown]
	v_add_f64 v[168:169], v[4:5], v[0:1]
	v_mul_f64 v[0:1], v[211:212], s[48:49]
	v_add_f64 v[16:17], v[52:53], v[16:17]
	v_add_f64 v[8:9], v[12:13], v[8:9]
	v_mul_f64 v[52:53], v[28:29], s[54:55]
	v_add_f64 v[12:13], v[76:77], v[16:17]
	v_add_f64 v[8:9], v[46:47], v[8:9]
	v_mul_f64 v[16:17], v[227:228], s[38:39]
	v_fma_f64 v[76:77], v[207:208], s[40:41], -v[52:53]
	v_mul_f64 v[46:47], v[237:238], s[56:57]
	v_fma_f64 v[52:53], v[207:208], s[40:41], v[52:53]
	v_add_f64 v[12:13], v[152:153], v[12:13]
	v_add_f64 v[8:9], v[74:75], v[8:9]
	v_fma_f64 v[152:153], v[213:214], s[30:31], -v[16:17]
	v_mul_f64 v[74:75], v[245:246], s[22:23]
	v_fma_f64 v[4:5], v[213:214], s[30:31], v[16:17]
	v_mul_f64 v[16:17], v[164:165], s[38:39]
	s_waitcnt vmcnt(4)
	v_mul_f64 v[10:11], v[20:21], s[44:45]
	v_mov_b32_e32 v167, v21
	v_mov_b32_e32 v166, v20
	v_fma_f64 v[44:45], v[189:190], s[10:11], -v[10:11]
	v_fma_f64 v[10:11], v[189:190], s[10:11], v[10:11]
	v_add_f64 v[44:45], v[100:101], v[44:45]
	v_add_f64 v[10:11], v[100:101], v[10:11]
	;; [unrolled: 1-line block ×3, first 2 shown]
	v_mul_f64 v[72:73], v[235:236], s[38:39]
	v_add_f64 v[10:11], v[18:19], v[10:11]
	v_fma_f64 v[18:19], v[241:242], s[8:9], v[2:3]
	v_fma_f64 v[2:3], v[241:242], s[8:9], -v[2:3]
	v_add_f64 v[44:45], v[78:79], v[44:45]
	v_mul_f64 v[78:79], v[243:244], s[56:57]
	v_fma_f64 v[154:155], v[215:216], s[30:31], v[72:73]
	v_fma_f64 v[72:73], v[215:216], s[30:31], -v[72:73]
	v_add_f64 v[10:11], v[54:55], v[10:11]
	v_fma_f64 v[54:55], v[195:196], s[30:31], -v[16:17]
	s_mov_b32 s57, 0x3fc7851a
	s_mov_b32 s56, s38
	v_add_f64 v[44:45], v[76:77], v[44:45]
	v_fma_f64 v[76:77], v[223:224], s[26:27], v[78:79]
	v_add_f64 v[12:13], v[154:155], v[12:13]
	v_fma_f64 v[78:79], v[223:224], s[26:27], -v[78:79]
	v_add_f64 v[8:9], v[72:73], v[8:9]
	v_fma_f64 v[154:155], v[221:222], s[26:27], -v[46:47]
	v_mul_f64 v[72:73], v[251:252], s[16:17]
	v_add_f64 v[10:11], v[52:53], v[10:11]
	v_add_f64 v[44:45], v[152:153], v[44:45]
	v_mul_f64 v[52:53], v[22:23], s[42:43]
	v_add_f64 v[12:13], v[76:77], v[12:13]
	v_fma_f64 v[76:77], v[231:232], s[20:21], -v[74:75]
	v_add_f64 v[8:9], v[78:79], v[8:9]
	v_add_f64 v[4:5], v[4:5], v[10:11]
	;; [unrolled: 1-line block ×3, first 2 shown]
	v_fma_f64 v[10:11], v[231:232], s[20:21], v[74:75]
	v_add_f64 v[12:13], v[14:15], v[12:13]
	v_fma_f64 v[14:15], v[239:240], s[8:9], -v[72:73]
	v_add_f64 v[6:7], v[6:7], v[8:9]
	v_mul_f64 v[8:9], v[20:21], s[48:49]
	v_fma_f64 v[74:75], v[201:202], s[10:11], -v[52:53]
	v_fma_f64 v[20:21], v[207:208], s[30:31], -v[217:218]
	v_add_f64 v[44:45], v[76:77], v[44:45]
	v_add_f64 v[174:175], v[18:19], v[12:13]
	v_fma_f64 v[12:13], v[191:192], s[26:27], v[0:1]
	v_add_f64 v[178:179], v[2:3], v[6:7]
	v_mul_f64 v[6:7], v[229:230], s[38:39]
	v_fma_f64 v[18:19], v[189:190], s[26:27], -v[8:9]
	v_fma_f64 v[0:1], v[191:192], s[26:27], -v[0:1]
	v_add_f64 v[172:173], v[14:15], v[44:45]
	v_fma_f64 v[14:15], v[221:222], s[26:27], v[46:47]
	v_mul_f64 v[44:45], v[219:220], s[42:43]
	v_add_f64 v[12:13], v[102:103], v[12:13]
	v_fma_f64 v[2:3], v[239:240], s[8:9], v[72:73]
	v_fma_f64 v[46:47], v[197:198], s[30:31], v[6:7]
	v_add_f64 v[18:19], v[100:101], v[18:19]
	v_fma_f64 v[6:7], v[197:198], s[30:31], -v[6:7]
	v_add_f64 v[0:1], v[102:103], v[0:1]
	v_add_f64 v[4:5], v[14:15], v[4:5]
	v_mul_f64 v[14:15], v[225:226], s[50:51]
	v_fma_f64 v[72:73], v[203:204], s[10:11], v[44:45]
	v_fma_f64 v[44:45], v[203:204], s[10:11], -v[44:45]
	v_add_f64 v[12:13], v[46:47], v[12:13]
	v_mul_f64 v[46:47], v[28:29], s[50:51]
	v_add_f64 v[18:19], v[54:55], v[18:19]
	v_mul_f64 v[54:55], v[235:236], s[54:55]
	v_add_f64 v[0:1], v[6:7], v[0:1]
	v_fma_f64 v[76:77], v[209:210], s[20:21], v[14:15]
	v_mul_f64 v[6:7], v[243:244], s[24:25]
	v_fma_f64 v[14:15], v[209:210], s[20:21], -v[14:15]
	v_add_f64 v[12:13], v[72:73], v[12:13]
	v_mul_f64 v[72:73], v[227:228], s[54:55]
	v_fma_f64 v[78:79], v[207:208], s[20:21], -v[46:47]
	v_add_f64 v[18:19], v[74:75], v[18:19]
	v_fma_f64 v[74:75], v[215:216], s[40:41], v[54:55]
	v_add_f64 v[0:1], v[44:45], v[0:1]
	v_mul_f64 v[44:45], v[247:248], s[60:61]
	v_fma_f64 v[54:55], v[215:216], s[40:41], -v[54:55]
	v_add_f64 v[12:13], v[76:77], v[12:13]
	v_mul_f64 v[76:77], v[237:238], s[24:25]
	v_fma_f64 v[152:153], v[213:214], s[40:41], -v[72:73]
	v_add_f64 v[18:19], v[78:79], v[18:19]
	v_fma_f64 v[78:79], v[223:224], s[18:19], v[6:7]
	v_add_f64 v[0:1], v[14:15], v[0:1]
	;; [unrolled: 8-line block ×3, first 2 shown]
	v_add_f64 v[4:5], v[10:11], v[4:5]
	v_fma_f64 v[8:9], v[189:190], s[26:27], v[8:9]
	v_add_f64 v[12:13], v[78:79], v[12:13]
	v_mul_f64 v[78:79], v[251:252], s[52:53]
	v_fma_f64 v[156:157], v[231:232], s[8:9], -v[74:75]
	v_add_f64 v[18:19], v[154:155], v[18:19]
	v_fma_f64 v[10:11], v[241:242], s[34:35], v[14:15]
	v_add_f64 v[0:1], v[6:7], v[0:1]
	v_add_f64 v[176:177], v[2:3], v[4:5]
	v_fma_f64 v[2:3], v[195:196], s[30:31], v[16:17]
	v_add_f64 v[12:13], v[152:153], v[12:13]
	v_mul_f64 v[4:5], v[211:212], s[54:55]
	v_add_f64 v[6:7], v[100:101], v[8:9]
	v_fma_f64 v[54:55], v[239:240], s[34:35], -v[78:79]
	v_add_f64 v[18:19], v[156:157], v[18:19]
	v_fma_f64 v[44:45], v[233:234], s[8:9], -v[44:45]
	v_fma_f64 v[8:9], v[241:242], s[34:35], -v[14:15]
	v_mul_f64 v[16:17], v[166:167], s[54:55]
	v_add_f64 v[182:183], v[10:11], v[12:13]
	v_fma_f64 v[10:11], v[201:202], s[10:11], v[52:53]
	v_mul_f64 v[12:13], v[229:230], s[16:17]
	v_fma_f64 v[14:15], v[191:192], s[40:41], v[4:5]
	v_add_f64 v[2:3], v[2:3], v[6:7]
	v_add_f64 v[180:181], v[54:55], v[18:19]
	;; [unrolled: 1-line block ×3, first 2 shown]
	v_fma_f64 v[6:7], v[207:208], s[20:21], v[46:47]
	v_mul_f64 v[18:19], v[219:220], s[56:57]
	v_mul_f64 v[52:53], v[164:165], s[16:17]
	v_fma_f64 v[44:45], v[197:198], s[8:9], v[12:13]
	v_add_f64 v[14:15], v[102:103], v[14:15]
	v_add_f64 v[2:3], v[10:11], v[2:3]
	v_fma_f64 v[54:55], v[189:190], s[40:41], -v[16:17]
	v_fma_f64 v[10:11], v[239:240], s[34:35], v[78:79]
	v_fma_f64 v[46:47], v[213:214], s[40:41], v[72:73]
	v_mul_f64 v[72:73], v[225:226], s[42:43]
	v_fma_f64 v[78:79], v[203:204], s[30:31], v[18:19]
	v_mul_f64 v[152:153], v[235:236], s[52:53]
	v_add_f64 v[14:15], v[44:45], v[14:15]
	v_add_f64 v[2:3], v[6:7], v[2:3]
	v_fma_f64 v[6:7], v[221:222], s[18:19], v[76:77]
	v_mul_f64 v[44:45], v[22:23], s[56:57]
	v_fma_f64 v[76:77], v[195:196], s[8:9], -v[52:53]
	v_add_f64 v[54:55], v[100:101], v[54:55]
	v_fma_f64 v[154:155], v[209:210], s[10:11], v[72:73]
	v_fma_f64 v[4:5], v[191:192], s[40:41], -v[4:5]
	v_add_f64 v[14:15], v[78:79], v[14:15]
	v_add_f64 v[2:3], v[46:47], v[2:3]
	v_fma_f64 v[46:47], v[231:232], s[8:9], v[74:75]
	v_mul_f64 v[74:75], v[28:29], s[42:43]
	v_fma_f64 v[78:79], v[201:202], s[30:31], -v[44:45]
	v_add_f64 v[54:55], v[76:77], v[54:55]
	v_fma_f64 v[156:157], v[215:216], s[34:35], v[152:153]
	v_fma_f64 v[12:13], v[197:198], s[8:9], -v[12:13]
	v_add_f64 v[14:15], v[154:155], v[14:15]
	v_add_f64 v[2:3], v[6:7], v[2:3]
	v_mul_f64 v[6:7], v[227:228], s[52:53]
	v_fma_f64 v[154:155], v[207:208], s[10:11], -v[74:75]
	v_add_f64 v[4:5], v[102:103], v[4:5]
	v_add_f64 v[54:55], v[78:79], v[54:55]
	v_mul_f64 v[76:77], v[243:244], s[22:23]
	v_fma_f64 v[18:19], v[203:204], s[30:31], -v[18:19]
	v_add_f64 v[14:15], v[156:157], v[14:15]
	v_mul_f64 v[156:157], v[237:238], s[22:23]
	v_fma_f64 v[184:185], v[213:214], s[34:35], -v[6:7]
	v_add_f64 v[46:47], v[46:47], v[2:3]
	v_add_f64 v[4:5], v[12:13], v[4:5]
	;; [unrolled: 1-line block ×3, first 2 shown]
	v_mul_f64 v[78:79], v[247:248], s[48:49]
	v_fma_f64 v[158:159], v[223:224], s[20:21], v[76:77]
	v_fma_f64 v[72:73], v[209:210], s[10:11], -v[72:73]
	v_fma_f64 v[12:13], v[221:222], s[20:21], -v[156:157]
	v_add_f64 v[2:3], v[8:9], v[0:1]
	v_add_f64 v[0:1], v[10:11], v[46:47]
	;; [unrolled: 1-line block ×4, first 2 shown]
	v_mul_f64 v[10:11], v[211:212], s[36:37]
	v_mul_f64 v[154:155], v[249:250], s[24:25]
	v_fma_f64 v[186:187], v[233:234], s[26:27], v[78:79]
	v_add_f64 v[14:15], v[158:159], v[14:15]
	v_mul_f64 v[158:159], v[245:246], s[48:49]
	v_fma_f64 v[8:9], v[215:216], s[34:35], -v[152:153]
	v_add_f64 v[4:5], v[72:73], v[4:5]
	v_add_f64 v[12:13], v[12:13], v[54:55]
	v_fma_f64 v[16:17], v[189:190], s[40:41], v[16:17]
	v_mul_f64 v[54:55], v[229:230], s[48:49]
	v_fma_f64 v[72:73], v[191:192], s[34:35], v[10:11]
	v_fma_f64 v[184:185], v[241:242], s[18:19], v[154:155]
	v_add_f64 v[14:15], v[186:187], v[14:15]
	v_fma_f64 v[18:19], v[231:232], s[26:27], -v[158:159]
	v_fma_f64 v[46:47], v[223:224], s[20:21], -v[76:77]
	v_add_f64 v[4:5], v[8:9], v[4:5]
	v_fma_f64 v[8:9], v[233:234], s[26:27], -v[78:79]
	v_fma_f64 v[52:53], v[195:196], s[8:9], v[52:53]
	v_mul_f64 v[76:77], v[166:167], s[36:37]
	v_add_f64 v[16:17], v[100:101], v[16:17]
	v_mul_f64 v[78:79], v[219:220], s[16:17]
	v_fma_f64 v[152:153], v[197:198], s[26:27], v[54:55]
	v_add_f64 v[72:73], v[102:103], v[72:73]
	v_add_f64 v[186:187], v[184:185], v[14:15]
	;; [unrolled: 1-line block ×3, first 2 shown]
	v_fma_f64 v[18:19], v[241:242], s[18:19], -v[154:155]
	v_add_f64 v[4:5], v[46:47], v[4:5]
	v_fma_f64 v[44:45], v[201:202], s[30:31], v[44:45]
	v_mul_f64 v[154:155], v[164:165], s[48:49]
	v_fma_f64 v[46:47], v[189:190], s[34:35], -v[76:77]
	v_add_f64 v[16:17], v[52:53], v[16:17]
	v_mul_f64 v[52:53], v[225:226], s[38:39]
	v_fma_f64 v[184:185], v[203:204], s[8:9], v[78:79]
	v_add_f64 v[72:73], v[152:153], v[72:73]
	v_fma_f64 v[74:75], v[207:208], s[10:11], v[74:75]
	v_mul_f64 v[152:153], v[22:23], s[16:17]
	v_fma_f64 v[199:200], v[195:196], s[26:27], -v[154:155]
	v_add_f64 v[46:47], v[100:101], v[46:47]
	v_add_f64 v[16:17], v[44:45], v[16:17]
	v_mul_f64 v[44:45], v[235:236], s[58:59]
	v_fma_f64 v[205:206], v[209:210], s[30:31], v[52:53]
	v_add_f64 v[72:73], v[184:185], v[72:73]
	v_fma_f64 v[6:7], v[213:214], s[34:35], v[6:7]
	v_fma_f64 v[184:185], v[201:202], s[8:9], -v[152:153]
	v_fma_f64 v[156:157], v[221:222], s[20:21], v[156:157]
	v_add_f64 v[46:47], v[199:200], v[46:47]
	v_add_f64 v[16:17], v[74:75], v[16:17]
	v_mul_f64 v[74:75], v[243:244], s[42:43]
	v_fma_f64 v[199:200], v[215:216], s[18:19], v[44:45]
	v_add_f64 v[72:73], v[205:206], v[72:73]
	v_mul_f64 v[205:206], v[227:228], s[58:59]
	v_fma_f64 v[14:15], v[239:240], s[18:19], -v[193:194]
	v_add_f64 v[4:5], v[8:9], v[4:5]
	v_add_f64 v[22:23], v[184:185], v[46:47]
	;; [unrolled: 1-line block ×3, first 2 shown]
	v_mul_f64 v[16:17], v[247:248], s[46:47]
	v_fma_f64 v[46:47], v[223:224], s[10:11], v[74:75]
	v_add_f64 v[72:73], v[199:200], v[72:73]
	v_mul_f64 v[199:200], v[237:238], s[42:43]
	v_fma_f64 v[184:185], v[213:214], s[18:19], -v[205:206]
	v_mul_f64 v[8:9], v[245:246], s[46:47]
	v_add_f64 v[20:21], v[20:21], v[22:23]
	v_add_f64 v[6:7], v[156:157], v[6:7]
	v_mul_f64 v[22:23], v[249:250], s[50:51]
	v_fma_f64 v[156:157], v[233:234], s[40:41], v[16:17]
	v_add_f64 v[46:47], v[46:47], v[72:73]
	v_fma_f64 v[72:73], v[221:222], s[10:11], -v[199:200]
	v_fma_f64 v[10:11], v[191:192], s[34:35], -v[10:11]
	;; [unrolled: 1-line block ×3, first 2 shown]
	v_add_f64 v[20:21], v[184:185], v[20:21]
	v_add_f64 v[184:185], v[14:15], v[12:13]
	v_fma_f64 v[24:25], v[241:242], s[20:21], v[22:23]
	v_fma_f64 v[12:13], v[197:198], s[26:27], -v[54:55]
	v_add_f64 v[26:27], v[156:157], v[46:47]
	v_fma_f64 v[14:15], v[241:242], s[20:21], -v[22:23]
	v_add_f64 v[10:11], v[102:103], v[10:11]
	v_fma_f64 v[22:23], v[189:190], s[34:35], v[76:77]
	v_add_f64 v[20:21], v[72:73], v[20:21]
	v_fma_f64 v[30:31], v[195:196], s[26:27], v[154:155]
	v_add_f64 v[72:73], v[102:103], v[110:111]
	v_mul_f64 v[110:111], v[162:163], s[48:49]
	v_add_f64 v[46:47], v[24:25], v[26:27]
	v_mul_f64 v[26:27], v[211:212], s[22:23]
	v_fma_f64 v[24:25], v[203:204], s[8:9], -v[78:79]
	v_add_f64 v[10:11], v[12:13], v[10:11]
	v_add_f64 v[20:21], v[28:29], v[20:21]
	v_fma_f64 v[28:29], v[215:216], s[18:19], -v[44:45]
	v_add_f64 v[22:23], v[100:101], v[22:23]
	v_fma_f64 v[44:45], v[209:210], s[30:31], -v[52:53]
	v_mul_f64 v[52:53], v[229:230], s[36:37]
	v_fma_f64 v[54:55], v[191:192], s[20:21], v[26:27]
	v_fma_f64 v[12:13], v[223:224], s[10:11], -v[74:75]
	v_add_f64 v[10:11], v[24:25], v[10:11]
	v_fma_f64 v[24:25], v[201:202], s[8:9], v[152:153]
	v_add_f64 v[74:75], v[100:101], v[108:109]
	v_add_f64 v[22:23], v[30:31], v[22:23]
	v_mul_f64 v[30:31], v[219:220], s[54:55]
	v_fma_f64 v[76:77], v[197:198], s[34:35], v[52:53]
	v_add_f64 v[54:55], v[102:103], v[54:55]
	v_add_f64 v[72:73], v[72:73], v[114:115]
	;; [unrolled: 1-line block ×3, first 2 shown]
	v_fma_f64 v[44:45], v[207:208], s[30:31], v[217:218]
	v_add_f64 v[74:75], v[74:75], v[112:113]
	v_add_f64 v[22:23], v[24:25], v[22:23]
	v_mul_f64 v[24:25], v[225:226], s[48:49]
	v_fma_f64 v[78:79], v[203:204], s[40:41], v[30:31]
	v_add_f64 v[54:55], v[76:77], v[54:55]
	v_fma_f64 v[26:27], v[191:192], s[20:21], -v[26:27]
	v_mul_f64 v[112:113], v[164:165], s[36:37]
	v_fma_f64 v[52:53], v[197:198], s[34:35], -v[52:53]
	v_add_f64 v[74:75], v[74:75], v[104:105]
	v_add_f64 v[22:23], v[44:45], v[22:23]
	v_mul_f64 v[44:45], v[235:236], s[44:45]
	v_fma_f64 v[76:77], v[209:210], s[26:27], v[24:25]
	v_add_f64 v[54:55], v[78:79], v[54:55]
	v_add_f64 v[26:27], v[102:103], v[26:27]
	v_fma_f64 v[102:103], v[195:196], s[34:35], v[112:113]
	v_fma_f64 v[112:113], v[195:196], s[34:35], -v[112:113]
	v_add_f64 v[74:75], v[74:75], v[116:117]
	v_mul_f64 v[116:117], v[160:161], s[54:55]
	v_fma_f64 v[78:79], v[215:216], s[10:11], v[44:45]
	v_fma_f64 v[30:31], v[203:204], s[40:41], -v[30:31]
	v_add_f64 v[54:55], v[76:77], v[54:55]
	v_add_f64 v[26:27], v[52:53], v[26:27]
	;; [unrolled: 1-line block ×4, first 2 shown]
	v_fma_f64 v[16:17], v[233:234], s[40:41], -v[16:17]
	v_fma_f64 v[52:53], v[201:202], s[40:41], v[116:117]
	v_fma_f64 v[28:29], v[213:214], s[18:19], v[205:206]
	v_mul_f64 v[108:109], v[227:228], s[44:45]
	v_add_f64 v[54:55], v[78:79], v[54:55]
	v_mul_f64 v[78:79], v[166:167], s[22:23]
	v_add_f64 v[26:27], v[30:31], v[26:27]
	v_fma_f64 v[30:31], v[207:208], s[26:27], v[110:111]
	v_add_f64 v[10:11], v[12:13], v[10:11]
	v_add_f64 v[72:73], v[72:73], v[118:119]
	;; [unrolled: 1-line block ×3, first 2 shown]
	v_mul_f64 v[28:29], v[243:244], s[16:17]
	v_fma_f64 v[24:25], v[209:210], s[26:27], -v[24:25]
	v_fma_f64 v[114:115], v[189:190], s[20:21], v[78:79]
	v_fma_f64 v[78:79], v[189:190], s[20:21], -v[78:79]
	v_fma_f64 v[12:13], v[221:222], s[10:11], v[199:200]
	v_add_f64 v[10:11], v[16:17], v[10:11]
	v_add_f64 v[16:17], v[72:73], v[122:123]
	;; [unrolled: 1-line block ×3, first 2 shown]
	v_fma_f64 v[74:75], v[223:224], s[8:9], v[28:29]
	v_mul_f64 v[106:107], v[237:238], s[16:17]
	v_add_f64 v[114:115], v[100:101], v[114:115]
	v_add_f64 v[78:79], v[100:101], v[78:79]
	v_fma_f64 v[44:45], v[215:216], s[10:11], -v[44:45]
	v_add_f64 v[104:105], v[14:15], v[10:11]
	v_add_f64 v[10:11], v[16:17], v[126:127]
	;; [unrolled: 1-line block ×4, first 2 shown]
	v_fma_f64 v[26:27], v[213:214], s[10:11], v[108:109]
	v_add_f64 v[100:101], v[102:103], v[114:115]
	v_fma_f64 v[102:103], v[201:202], s[40:41], -v[116:117]
	v_add_f64 v[78:79], v[112:113], v[78:79]
	v_fma_f64 v[8:9], v[231:232], s[40:41], v[8:9]
	v_add_f64 v[10:11], v[10:11], v[130:131]
	v_add_f64 v[14:15], v[14:15], v[128:129]
	v_add_f64 v[12:13], v[12:13], v[22:23]
	v_mul_f64 v[22:23], v[247:248], s[24:25]
	v_add_f64 v[52:53], v[52:53], v[100:101]
	v_fma_f64 v[100:101], v[207:208], s[26:27], -v[110:111]
	v_add_f64 v[78:79], v[102:103], v[78:79]
	buffer_load_dword v110, off, s[64:67], 0 offset:176 ; 4-byte Folded Reload
	buffer_load_dword v111, off, s[64:67], 0 offset:180 ; 4-byte Folded Reload
	;; [unrolled: 1-line block ×4, first 2 shown]
	v_add_f64 v[10:11], v[10:11], v[134:135]
	v_add_f64 v[14:15], v[14:15], v[132:133]
	v_fma_f64 v[158:159], v[231:232], s[26:27], v[158:159]
	v_mul_f64 v[156:157], v[251:252], s[50:51]
	v_add_f64 v[30:31], v[30:31], v[52:53]
	v_fma_f64 v[52:53], v[213:214], s[10:11], -v[108:109]
	v_add_f64 v[78:79], v[100:101], v[78:79]
	buffer_load_dword v100, off, s[64:67], 0 offset:208 ; 4-byte Folded Reload
	buffer_load_dword v101, off, s[64:67], 0 offset:212 ; 4-byte Folded Reload
	;; [unrolled: 1-line block ×4, first 2 shown]
	v_add_f64 v[10:11], v[10:11], v[138:139]
	v_add_f64 v[14:15], v[14:15], v[136:137]
	;; [unrolled: 1-line block ×3, first 2 shown]
	v_mul_f64 v[74:75], v[245:246], s[24:25]
	v_add_f64 v[24:25], v[44:45], v[24:25]
	v_fma_f64 v[44:45], v[221:222], s[8:9], v[106:107]
	v_add_f64 v[26:27], v[26:27], v[30:31]
	v_fma_f64 v[30:31], v[221:222], s[8:9], -v[106:107]
	v_add_f64 v[10:11], v[10:11], v[142:143]
	v_add_f64 v[14:15], v[14:15], v[140:141]
	v_add_f64 v[52:53], v[52:53], v[78:79]
	v_add_f64 v[16:17], v[8:9], v[12:13]
	v_fma_f64 v[12:13], v[233:234], s[18:19], v[22:23]
	v_add_f64 v[158:159], v[158:159], v[6:7]
	v_add_f64 v[6:7], v[18:19], v[4:5]
	v_fma_f64 v[18:19], v[239:240], s[20:21], -v[156:157]
	v_add_f64 v[10:11], v[10:11], v[146:147]
	v_add_f64 v[14:15], v[14:15], v[144:145]
	;; [unrolled: 1-line block ×3, first 2 shown]
	v_fma_f64 v[44:45], v[231:232], s[18:19], -v[74:75]
	v_add_f64 v[30:31], v[30:31], v[52:53]
	v_add_f64 v[54:55], v[12:13], v[54:55]
	v_fma_f64 v[28:29], v[223:224], s[8:9], -v[28:29]
	v_mul_f64 v[8:9], v[249:250], s[38:39]
	v_mul_f64 v[72:73], v[251:252], s[38:39]
	v_fma_f64 v[22:23], v[233:234], s[18:19], -v[22:23]
	v_fma_f64 v[76:77], v[239:240], s[20:21], v[156:157]
	v_fma_f64 v[193:194], v[239:240], s[18:19], v[193:194]
	v_add_f64 v[30:31], v[44:45], v[30:31]
	v_add_f64 v[44:45], v[18:19], v[20:21]
	;; [unrolled: 1-line block ×3, first 2 shown]
	v_fma_f64 v[28:29], v[231:232], s[18:19], v[74:75]
	v_fma_f64 v[52:53], v[241:242], s[30:31], -v[8:9]
	v_mul_lo_u16_e32 v20, 17, v255
	v_add_f64 v[4:5], v[193:194], v[158:159]
	v_add_f64 v[22:23], v[22:23], v[24:25]
	v_fma_f64 v[24:25], v[239:240], s[30:31], v[72:73]
	v_add_f64 v[26:27], v[28:29], v[26:27]
	v_fma_f64 v[28:29], v[241:242], s[30:31], v[8:9]
	v_fma_f64 v[72:73], v[239:240], s[30:31], -v[72:73]
	v_add_f64 v[8:9], v[24:25], v[26:27]
	v_add_f64 v[18:19], v[28:29], v[54:55]
	s_waitcnt vmcnt(4)
	v_add_f64 v[10:11], v[10:11], v[112:113]
	v_add_f64 v[14:15], v[14:15], v[110:111]
	s_waitcnt vmcnt(0)
	v_add_f64 v[10:11], v[10:11], v[102:103]
	v_add_f64 v[14:15], v[14:15], v[100:101]
	;; [unrolled: 1-line block ×6, first 2 shown]
	buffer_load_dword v48, off, s[64:67], 0 offset:224 ; 4-byte Folded Reload
	buffer_load_dword v49, off, s[64:67], 0 offset:228 ; 4-byte Folded Reload
	buffer_load_dword v50, off, s[64:67], 0 offset:232 ; 4-byte Folded Reload
	buffer_load_dword v51, off, s[64:67], 0 offset:236 ; 4-byte Folded Reload
	s_waitcnt vmcnt(2)
	v_add_f64 v[78:79], v[14:15], v[48:49]
	buffer_load_dword v12, off, s[64:67], 0 offset:192 ; 4-byte Folded Reload
	buffer_load_dword v13, off, s[64:67], 0 offset:196 ; 4-byte Folded Reload
	;; [unrolled: 1-line block ×5, first 2 shown]
	s_waitcnt vmcnt(5)
	v_add_f64 v[74:75], v[10:11], v[50:51]
	v_add_f64 v[10:11], v[52:53], v[22:23]
	s_waitcnt vmcnt(1)
	v_add_f64 v[14:15], v[74:75], v[14:15]
	v_add_f64 v[12:13], v[78:79], v[12:13]
	s_waitcnt vmcnt(0)
	v_lshl_add_u32 v20, v20, 4, v21
	ds_write_b128 v20, v[12:15]
	ds_write_b128 v20, v[8:11] offset:16
	ds_write_b128 v20, v[102:105] offset:32
	;; [unrolled: 1-line block ×6, first 2 shown]
	buffer_load_dword v0, off, s[64:67], 0 offset:288 ; 4-byte Folded Reload
	buffer_load_dword v1, off, s[64:67], 0 offset:292 ; 4-byte Folded Reload
	buffer_load_dword v2, off, s[64:67], 0 offset:296 ; 4-byte Folded Reload
	buffer_load_dword v3, off, s[64:67], 0 offset:300 ; 4-byte Folded Reload
	s_waitcnt vmcnt(0)
	ds_write_b128 v20, v[0:3] offset:112
	buffer_load_dword v0, off, s[64:67], 0 offset:272 ; 4-byte Folded Reload
	buffer_load_dword v1, off, s[64:67], 0 offset:276 ; 4-byte Folded Reload
	buffer_load_dword v2, off, s[64:67], 0 offset:280 ; 4-byte Folded Reload
	buffer_load_dword v3, off, s[64:67], 0 offset:284 ; 4-byte Folded Reload
	s_waitcnt vmcnt(0)
	ds_write_b128 v20, v[0:3] offset:128
	;; [unrolled: 6-line block ×4, first 2 shown]
	ds_write_b128 v20, v[148:151] offset:176
	ds_write_b128 v20, v[172:175] offset:192
	;; [unrolled: 1-line block ×6, first 2 shown]
.LBB0_17:
	s_or_b64 exec, exec, s[28:29]
	s_waitcnt lgkmcnt(0)
	s_barrier
	ds_read_b128 v[0:3], v253 offset:1632
	ds_read_b128 v[8:11], v253 offset:4896
	;; [unrolled: 1-line block ×3, first 2 shown]
	s_mov_b32 s18, 0xf8bb580b
	s_mov_b32 s19, 0xbfe14ced
	s_waitcnt lgkmcnt(2)
	v_mul_f64 v[12:13], v[70:71], v[2:3]
	v_mul_f64 v[14:15], v[70:71], v[0:1]
	s_mov_b32 s10, 0x8764f0ba
	s_mov_b32 s8, 0x8eee2c13
	;; [unrolled: 1-line block ×6, first 2 shown]
	v_fma_f64 v[20:21], v[68:69], v[0:1], v[12:13]
	v_fma_f64 v[22:23], v[68:69], v[2:3], -v[14:15]
	ds_read_b128 v[12:15], v253
	s_waitcnt lgkmcnt(1)
	v_mul_f64 v[16:17], v[62:63], v[6:7]
	v_mul_f64 v[18:19], v[62:63], v[4:5]
	buffer_load_dword v32, off, s[64:67], 0 offset:56 ; 4-byte Folded Reload
	buffer_load_dword v33, off, s[64:67], 0 offset:60 ; 4-byte Folded Reload
	;; [unrolled: 1-line block ×4, first 2 shown]
	ds_read_b128 v[0:3], v253 offset:6528
	s_mov_b32 s34, 0x7f775887
	s_mov_b32 s38, 0xfd768dbf
	;; [unrolled: 1-line block ×4, first 2 shown]
	v_fma_f64 v[28:29], v[60:61], v[4:5], v[16:17]
	v_fma_f64 v[30:31], v[60:61], v[6:7], -v[18:19]
	ds_read_b128 v[4:7], v253 offset:8160
	buffer_load_dword v60, off, s[64:67], 0 offset:24 ; 4-byte Folded Reload
	buffer_load_dword v61, off, s[64:67], 0 offset:28 ; 4-byte Folded Reload
	;; [unrolled: 1-line block ×4, first 2 shown]
	s_waitcnt lgkmcnt(2)
	v_add_f64 v[16:17], v[12:13], v[20:21]
	v_add_f64 v[18:19], v[14:15], v[22:23]
	s_mov_b32 s9, 0xbfed1bb4
	s_waitcnt lgkmcnt(0)
	v_mul_f64 v[50:51], v[66:67], v[6:7]
	v_mul_f64 v[52:53], v[66:67], v[4:5]
	s_mov_b32 s17, 0x3fda9628
	s_mov_b32 s23, 0xbfefac9e
	;; [unrolled: 1-line block ×6, first 2 shown]
	v_fma_f64 v[4:5], v[64:65], v[4:5], v[50:51]
	v_fma_f64 v[6:7], v[64:65], v[6:7], -v[52:53]
	s_mov_b32 s41, 0xbfeeb42a
	s_mov_b32 s25, 0x3fe14ced
	;; [unrolled: 1-line block ×11, first 2 shown]
	s_waitcnt vmcnt(4)
	v_mul_f64 v[24:25], v[34:35], v[10:11]
	v_mul_f64 v[26:27], v[34:35], v[8:9]
	v_fma_f64 v[46:47], v[32:33], v[8:9], v[24:25]
	s_waitcnt vmcnt(0)
	v_mul_f64 v[34:35], v[62:63], v[2:3]
	v_mul_f64 v[44:45], v[62:63], v[0:1]
	v_fma_f64 v[48:49], v[32:33], v[10:11], -v[26:27]
	v_add_f64 v[24:25], v[16:17], v[28:29]
	v_add_f64 v[26:27], v[18:19], v[30:31]
	ds_read_b128 v[8:11], v253 offset:9792
	ds_read_b128 v[16:19], v253 offset:11424
	v_fma_f64 v[54:55], v[60:61], v[0:1], v[34:35]
	v_fma_f64 v[44:45], v[60:61], v[2:3], -v[44:45]
	s_waitcnt lgkmcnt(1)
	v_mul_f64 v[66:67], v[38:39], v[10:11]
	v_add_f64 v[60:61], v[24:25], v[46:47]
	v_add_f64 v[62:63], v[26:27], v[48:49]
	ds_read_b128 v[0:3], v253 offset:13056
	ds_read_b128 v[24:27], v253 offset:14688
	;; [unrolled: 1-line block ×3, first 2 shown]
	buffer_load_dword v70, off, s[64:67], 0 offset:40 ; 4-byte Folded Reload
	buffer_load_dword v71, off, s[64:67], 0 offset:44 ; 4-byte Folded Reload
	;; [unrolled: 1-line block ×4, first 2 shown]
	v_mul_f64 v[38:39], v[38:39], v[8:9]
	v_fma_f64 v[8:9], v[36:37], v[8:9], v[66:67]
	buffer_load_dword v66, off, s[64:67], 0 offset:8 ; 4-byte Folded Reload
	buffer_load_dword v67, off, s[64:67], 0 offset:12 ; 4-byte Folded Reload
	;; [unrolled: 1-line block ×4, first 2 shown]
	v_add_f64 v[50:51], v[60:61], v[54:55]
	v_add_f64 v[52:53], v[62:63], v[44:45]
	s_waitcnt lgkmcnt(0)
	v_fma_f64 v[10:11], v[36:37], v[10:11], -v[38:39]
	s_waitcnt vmcnt(0)
	s_barrier
	v_add_f64 v[36:37], v[50:51], v[4:5]
	v_add_f64 v[38:39], v[52:53], v[6:7]
	v_mul_f64 v[50:51], v[58:59], v[32:33]
	v_mul_f64 v[58:59], v[58:59], v[34:35]
	v_add_f64 v[36:37], v[36:37], v[8:9]
	v_add_f64 v[38:39], v[38:39], v[10:11]
	v_fma_f64 v[34:35], v[56:57], v[34:35], -v[50:51]
	v_mul_f64 v[50:51], v[42:43], v[26:27]
	v_mul_f64 v[42:43], v[42:43], v[24:25]
	v_fma_f64 v[32:33], v[56:57], v[32:33], v[58:59]
	v_fma_f64 v[24:25], v[40:41], v[24:25], v[50:51]
	v_fma_f64 v[26:27], v[40:41], v[26:27], -v[42:43]
	v_add_f64 v[104:105], v[28:29], v[24:25]
	v_add_f64 v[100:101], v[30:31], -v[26:27]
	v_mul_f64 v[60:61], v[72:73], v[18:19]
	v_mul_f64 v[62:63], v[72:73], v[16:17]
	;; [unrolled: 1-line block ×4, first 2 shown]
	v_fma_f64 v[16:17], v[70:71], v[16:17], v[60:61]
	v_fma_f64 v[18:19], v[70:71], v[18:19], -v[62:63]
	v_fma_f64 v[52:53], v[66:67], v[0:1], v[52:53]
	v_fma_f64 v[60:61], v[66:67], v[2:3], -v[64:65]
	v_add_f64 v[0:1], v[36:37], v[16:17]
	v_add_f64 v[2:3], v[38:39], v[18:19]
	v_add_f64 v[36:37], v[22:23], -v[34:35]
	v_add_f64 v[22:23], v[22:23], v[34:35]
	v_add_f64 v[38:39], v[20:21], v[32:33]
	v_add_f64 v[20:21], v[20:21], -v[32:33]
	v_add_f64 v[0:1], v[0:1], v[52:53]
	v_add_f64 v[2:3], v[2:3], v[60:61]
	v_mul_f64 v[40:41], v[36:37], s[18:19]
	v_mul_f64 v[42:43], v[22:23], s[10:11]
	v_mul_f64 v[56:57], v[36:37], s[8:9]
	v_mul_f64 v[58:59], v[22:23], s[16:17]
	v_mul_f64 v[64:65], v[36:37], s[22:23]
	v_mul_f64 v[68:69], v[22:23], s[26:27]
	v_add_f64 v[0:1], v[0:1], v[24:25]
	v_add_f64 v[2:3], v[2:3], v[26:27]
	v_fma_f64 v[50:51], v[38:39], s[10:11], v[40:41]
	v_mul_f64 v[70:71], v[36:37], s[30:31]
	v_mul_f64 v[72:73], v[22:23], s[34:35]
	;; [unrolled: 1-line block ×4, first 2 shown]
	v_add_f64 v[26:27], v[30:31], v[26:27]
	v_fma_f64 v[62:63], v[20:21], s[24:25], v[42:43]
	v_add_f64 v[0:1], v[0:1], v[32:33]
	v_add_f64 v[2:3], v[2:3], v[34:35]
	v_fma_f64 v[32:33], v[38:39], s[10:11], -v[40:41]
	v_add_f64 v[34:35], v[12:13], v[50:51]
	v_fma_f64 v[40:41], v[20:21], s[18:19], v[42:43]
	v_fma_f64 v[50:51], v[20:21], s[20:21], v[58:59]
	;; [unrolled: 1-line block ×9, first 2 shown]
	v_add_f64 v[24:25], v[28:29], -v[24:25]
	v_mul_f64 v[28:29], v[100:101], s[8:9]
	v_mul_f64 v[106:107], v[26:27], s[16:17]
	v_fma_f64 v[20:21], v[20:21], s[38:39], v[22:23]
	v_fma_f64 v[42:43], v[38:39], s[16:17], v[56:57]
	v_add_f64 v[62:63], v[14:15], v[62:63]
	v_add_f64 v[40:41], v[14:15], v[40:41]
	;; [unrolled: 1-line block ×3, first 2 shown]
	v_fma_f64 v[56:57], v[38:39], s[16:17], -v[56:57]
	v_fma_f64 v[66:67], v[38:39], s[26:27], v[64:65]
	v_fma_f64 v[64:65], v[38:39], s[26:27], -v[64:65]
	v_fma_f64 v[76:77], v[38:39], s[34:35], v[70:71]
	v_add_f64 v[58:59], v[14:15], v[58:59]
	v_add_f64 v[74:75], v[14:15], v[74:75]
	;; [unrolled: 1-line block ×4, first 2 shown]
	v_fma_f64 v[70:71], v[38:39], s[34:35], -v[70:71]
	v_add_f64 v[72:73], v[14:15], v[72:73]
	v_fma_f64 v[36:37], v[38:39], s[40:41], -v[36:37]
	v_add_f64 v[22:23], v[12:13], v[30:31]
	v_add_f64 v[30:31], v[14:15], v[102:103]
	v_mul_f64 v[38:39], v[100:101], s[30:31]
	v_mul_f64 v[102:103], v[26:27], s[34:35]
	v_fma_f64 v[108:109], v[104:105], s[16:17], v[28:29]
	v_fma_f64 v[110:111], v[24:25], s[20:21], v[106:107]
	v_add_f64 v[14:15], v[14:15], v[20:21]
	v_fma_f64 v[20:21], v[104:105], s[16:17], -v[28:29]
	v_fma_f64 v[28:29], v[24:25], s[8:9], v[106:107]
	v_add_f64 v[32:33], v[12:13], v[32:33]
	v_add_f64 v[42:43], v[12:13], v[42:43]
	v_add_f64 v[56:57], v[12:13], v[56:57]
	v_add_f64 v[66:67], v[12:13], v[66:67]
	v_add_f64 v[64:65], v[12:13], v[64:65]
	v_add_f64 v[76:77], v[12:13], v[76:77]
	v_add_f64 v[70:71], v[12:13], v[70:71]
	v_add_f64 v[12:13], v[12:13], v[36:37]
	v_fma_f64 v[36:37], v[104:105], s[34:35], v[38:39]
	v_fma_f64 v[106:107], v[24:25], s[36:37], v[102:103]
	v_add_f64 v[34:35], v[108:109], v[34:35]
	v_add_f64 v[62:63], v[110:111], v[62:63]
	v_mul_f64 v[108:109], v[100:101], s[42:43]
	v_mul_f64 v[110:111], v[26:27], s[40:41]
	v_add_f64 v[28:29], v[28:29], v[40:41]
	v_fma_f64 v[38:39], v[104:105], s[34:35], -v[38:39]
	v_fma_f64 v[40:41], v[24:25], s[30:31], v[102:103]
	v_mul_f64 v[102:103], v[100:101], s[28:29]
	v_add_f64 v[20:21], v[20:21], v[32:33]
	v_add_f64 v[32:33], v[36:37], v[42:43]
	;; [unrolled: 1-line block ×3, first 2 shown]
	v_fma_f64 v[42:43], v[104:105], s[40:41], v[108:109]
	v_fma_f64 v[50:51], v[24:25], s[38:39], v[110:111]
	v_mul_f64 v[106:107], v[26:27], s[26:27]
	v_fma_f64 v[110:111], v[24:25], s[42:43], v[110:111]
	v_add_f64 v[38:39], v[38:39], v[56:57]
	v_fma_f64 v[56:57], v[104:105], s[26:27], v[102:103]
	v_mul_f64 v[26:27], v[26:27], s[10:11]
	v_add_f64 v[40:41], v[40:41], v[58:59]
	v_add_f64 v[42:43], v[42:43], v[66:67]
	;; [unrolled: 1-line block ×3, first 2 shown]
	v_fma_f64 v[74:75], v[24:25], s[28:29], v[106:107]
	v_add_f64 v[66:67], v[110:111], v[68:69]
	v_fma_f64 v[68:69], v[104:105], s[26:27], -v[102:103]
	v_add_f64 v[56:57], v[56:57], v[76:77]
	v_add_f64 v[76:77], v[48:49], -v[60:61]
	v_fma_f64 v[58:59], v[24:25], s[22:23], v[106:107]
	v_mul_f64 v[100:101], v[100:101], s[24:25]
	v_add_f64 v[48:49], v[48:49], v[60:61]
	v_fma_f64 v[108:109], v[104:105], s[40:41], -v[108:109]
	v_add_f64 v[60:61], v[68:69], v[70:71]
	v_add_f64 v[68:69], v[74:75], v[72:73]
	v_fma_f64 v[72:73], v[24:25], s[18:19], v[26:27]
	v_add_f64 v[74:75], v[46:47], v[52:53]
	v_add_f64 v[46:47], v[46:47], -v[52:53]
	v_mul_f64 v[52:53], v[76:77], s[22:23]
	v_add_f64 v[58:59], v[58:59], v[78:79]
	v_fma_f64 v[70:71], v[104:105], s[10:11], v[100:101]
	v_mul_f64 v[78:79], v[48:49], s[26:27]
	v_fma_f64 v[24:25], v[24:25], s[24:25], v[26:27]
	v_add_f64 v[26:27], v[72:73], v[30:31]
	v_mul_f64 v[30:31], v[76:77], s[42:43]
	v_fma_f64 v[100:101], v[104:105], s[10:11], -v[100:101]
	v_fma_f64 v[72:73], v[74:75], s[26:27], v[52:53]
	v_add_f64 v[64:65], v[108:109], v[64:65]
	v_add_f64 v[22:23], v[70:71], v[22:23]
	v_mul_f64 v[70:71], v[48:49], s[40:41]
	v_fma_f64 v[102:103], v[46:47], s[28:29], v[78:79]
	v_add_f64 v[14:15], v[24:25], v[14:15]
	v_fma_f64 v[24:25], v[74:75], s[26:27], -v[52:53]
	v_fma_f64 v[52:53], v[46:47], s[22:23], v[78:79]
	v_fma_f64 v[78:79], v[74:75], s[40:41], v[30:31]
	v_add_f64 v[34:35], v[72:73], v[34:35]
	v_mul_f64 v[72:73], v[76:77], s[20:21]
	v_add_f64 v[12:13], v[100:101], v[12:13]
	v_fma_f64 v[100:101], v[46:47], s[38:39], v[70:71]
	v_add_f64 v[62:63], v[102:103], v[62:63]
	v_mul_f64 v[102:103], v[48:49], s[16:17]
	v_add_f64 v[20:21], v[24:25], v[20:21]
	v_add_f64 v[24:25], v[52:53], v[28:29]
	;; [unrolled: 1-line block ×3, first 2 shown]
	v_fma_f64 v[30:31], v[74:75], s[40:41], -v[30:31]
	v_fma_f64 v[52:53], v[74:75], s[16:17], v[72:73]
	v_mul_f64 v[78:79], v[76:77], s[18:19]
	v_add_f64 v[32:33], v[100:101], v[36:37]
	v_fma_f64 v[36:37], v[46:47], s[42:43], v[70:71]
	v_fma_f64 v[70:71], v[46:47], s[8:9], v[102:103]
	v_fma_f64 v[72:73], v[74:75], s[16:17], -v[72:73]
	v_fma_f64 v[102:103], v[46:47], s[20:21], v[102:103]
	v_add_f64 v[30:31], v[30:31], v[38:39]
	v_add_f64 v[38:39], v[52:53], v[42:43]
	v_fma_f64 v[42:43], v[74:75], s[10:11], v[78:79]
	v_mul_f64 v[100:101], v[48:49], s[10:11]
	v_add_f64 v[36:37], v[36:37], v[40:41]
	v_add_f64 v[40:41], v[70:71], v[50:51]
	;; [unrolled: 1-line block ×4, first 2 shown]
	v_mul_f64 v[66:67], v[76:77], s[30:31]
	v_fma_f64 v[70:71], v[74:75], s[10:11], -v[78:79]
	v_add_f64 v[42:43], v[42:43], v[56:57]
	v_add_f64 v[56:57], v[44:45], -v[18:19]
	v_fma_f64 v[50:51], v[46:47], s[24:25], v[100:101]
	v_mul_f64 v[48:49], v[48:49], s[34:35]
	v_fma_f64 v[72:73], v[46:47], s[18:19], v[100:101]
	v_add_f64 v[18:19], v[44:45], v[18:19]
	v_fma_f64 v[44:45], v[74:75], s[34:35], v[66:67]
	v_add_f64 v[60:61], v[70:71], v[60:61]
	v_add_f64 v[70:71], v[54:55], v[16:17]
	v_add_f64 v[16:17], v[54:55], -v[16:17]
	v_mul_f64 v[54:55], v[56:57], s[30:31]
	v_add_f64 v[50:51], v[50:51], v[58:59]
	v_fma_f64 v[58:59], v[46:47], s[36:37], v[48:49]
	v_add_f64 v[68:69], v[72:73], v[68:69]
	v_mul_f64 v[72:73], v[18:19], s[34:35]
	v_add_f64 v[22:23], v[44:45], v[22:23]
	v_fma_f64 v[44:45], v[74:75], s[34:35], -v[66:67]
	v_fma_f64 v[46:47], v[46:47], s[30:31], v[48:49]
	v_fma_f64 v[66:67], v[70:71], s[34:35], v[54:55]
	v_mul_f64 v[48:49], v[56:57], s[28:29]
	v_add_f64 v[26:27], v[58:59], v[26:27]
	v_mul_f64 v[58:59], v[18:19], s[26:27]
	v_fma_f64 v[74:75], v[16:17], s[36:37], v[72:73]
	v_fma_f64 v[54:55], v[70:71], s[34:35], -v[54:55]
	v_fma_f64 v[72:73], v[16:17], s[30:31], v[72:73]
	v_add_f64 v[12:13], v[44:45], v[12:13]
	v_add_f64 v[34:35], v[66:67], v[34:35]
	v_mul_f64 v[66:67], v[18:19], s[10:11]
	v_add_f64 v[14:15], v[46:47], v[14:15]
	v_fma_f64 v[44:45], v[70:71], s[26:27], v[48:49]
	v_fma_f64 v[46:47], v[16:17], s[22:23], v[58:59]
	v_add_f64 v[62:63], v[74:75], v[62:63]
	v_add_f64 v[20:21], v[54:55], v[20:21]
	;; [unrolled: 1-line block ×3, first 2 shown]
	v_mul_f64 v[24:25], v[56:57], s[18:19]
	v_fma_f64 v[58:59], v[16:17], s[28:29], v[58:59]
	v_fma_f64 v[74:75], v[16:17], s[24:25], v[66:67]
	;; [unrolled: 1-line block ×3, first 2 shown]
	v_add_f64 v[28:29], v[44:45], v[28:29]
	v_mul_f64 v[44:45], v[56:57], s[38:39]
	v_add_f64 v[32:33], v[46:47], v[32:33]
	v_mul_f64 v[46:47], v[18:19], s[40:41]
	v_fma_f64 v[72:73], v[70:71], s[10:11], v[24:25]
	v_fma_f64 v[24:25], v[70:71], s[10:11], -v[24:25]
	v_add_f64 v[36:37], v[58:59], v[36:37]
	v_add_f64 v[58:59], v[66:67], v[64:65]
	v_add_f64 v[64:65], v[6:7], -v[10:11]
	v_add_f64 v[6:7], v[6:7], v[10:11]
	v_mul_f64 v[10:11], v[56:57], s[20:21]
	v_fma_f64 v[48:49], v[70:71], s[26:27], -v[48:49]
	v_fma_f64 v[76:77], v[70:71], s[40:41], v[44:45]
	v_add_f64 v[52:53], v[24:25], v[52:53]
	v_mul_f64 v[18:19], v[18:19], s[16:17]
	v_fma_f64 v[24:25], v[70:71], s[40:41], -v[44:45]
	v_add_f64 v[44:45], v[4:5], v[8:9]
	v_add_f64 v[4:5], v[4:5], -v[8:9]
	v_mul_f64 v[8:9], v[64:65], s[38:39]
	v_fma_f64 v[56:57], v[70:71], s[16:17], v[10:11]
	v_fma_f64 v[78:79], v[16:17], s[42:43], v[46:47]
	v_add_f64 v[48:49], v[48:49], v[30:31]
	v_fma_f64 v[30:31], v[16:17], s[38:39], v[46:47]
	v_mul_f64 v[46:47], v[6:7], s[40:41]
	v_fma_f64 v[66:67], v[16:17], s[8:9], v[18:19]
	v_fma_f64 v[16:17], v[16:17], s[20:21], v[18:19]
	;; [unrolled: 1-line block ×3, first 2 shown]
	v_add_f64 v[56:57], v[56:57], v[22:23]
	v_mul_f64 v[22:23], v[64:65], s[24:25]
	v_fma_f64 v[10:11], v[70:71], s[16:17], -v[10:11]
	v_add_f64 v[68:69], v[30:31], v[68:69]
	v_fma_f64 v[30:31], v[4:5], s[42:43], v[46:47]
	v_mul_f64 v[70:71], v[6:7], s[10:11]
	v_add_f64 v[40:41], v[74:75], v[40:41]
	v_add_f64 v[60:61], v[24:25], v[60:61]
	v_add_f64 v[74:75], v[16:17], v[14:15]
	v_add_f64 v[24:25], v[18:19], v[34:35]
	v_fma_f64 v[16:17], v[44:45], s[10:11], v[22:23]
	v_mul_f64 v[34:35], v[64:65], s[30:31]
	v_add_f64 v[38:39], v[72:73], v[38:39]
	v_add_f64 v[66:67], v[66:67], v[26:27]
	v_add_f64 v[72:73], v[10:11], v[12:13]
	v_add_f64 v[26:27], v[30:31], v[62:63]
	v_fma_f64 v[8:9], v[44:45], s[40:41], -v[8:9]
	v_fma_f64 v[10:11], v[4:5], s[38:39], v[46:47]
	v_fma_f64 v[18:19], v[4:5], s[18:19], v[70:71]
	v_mul_f64 v[46:47], v[6:7], s[34:35]
	v_fma_f64 v[22:23], v[44:45], s[10:11], -v[22:23]
	v_fma_f64 v[62:63], v[4:5], s[24:25], v[70:71]
	v_add_f64 v[28:29], v[16:17], v[28:29]
	v_fma_f64 v[16:17], v[44:45], s[34:35], v[34:35]
	v_add_f64 v[12:13], v[8:9], v[20:21]
	v_add_f64 v[14:15], v[10:11], v[54:55]
	;; [unrolled: 1-line block ×3, first 2 shown]
	v_fma_f64 v[18:19], v[4:5], s[36:37], v[46:47]
	v_add_f64 v[8:9], v[22:23], v[48:49]
	v_add_f64 v[10:11], v[62:63], v[36:37]
	v_fma_f64 v[20:21], v[44:45], s[34:35], -v[34:35]
	v_fma_f64 v[22:23], v[4:5], s[30:31], v[46:47]
	v_mul_f64 v[36:37], v[64:65], s[20:21]
	v_mul_f64 v[46:47], v[6:7], s[16:17]
	v_add_f64 v[32:33], v[16:17], v[38:39]
	v_mul_f64 v[38:39], v[64:65], s[22:23]
	v_mul_f64 v[6:7], v[6:7], s[26:27]
	v_add_f64 v[42:43], v[76:77], v[42:43]
	v_add_f64 v[50:51], v[78:79], v[50:51]
	;; [unrolled: 1-line block ×5, first 2 shown]
	v_fma_f64 v[20:21], v[44:45], s[16:17], v[36:37]
	v_fma_f64 v[22:23], v[4:5], s[8:9], v[46:47]
	v_fma_f64 v[40:41], v[44:45], s[16:17], -v[36:37]
	v_fma_f64 v[48:49], v[44:45], s[26:27], v[38:39]
	v_fma_f64 v[52:53], v[4:5], s[28:29], v[6:7]
	v_fma_f64 v[44:45], v[44:45], s[26:27], -v[38:39]
	v_fma_f64 v[6:7], v[4:5], s[22:23], v[6:7]
	v_fma_f64 v[46:47], v[4:5], s[20:21], v[46:47]
	v_add_f64 v[36:37], v[20:21], v[42:43]
	v_add_f64 v[38:39], v[22:23], v[50:51]
	;; [unrolled: 1-line block ×8, first 2 shown]
	ds_write_b128 v188, v[0:3]
	ds_write_b128 v188, v[24:27] offset:272
	ds_write_b128 v188, v[28:31] offset:544
	;; [unrolled: 1-line block ×10, first 2 shown]
	s_waitcnt lgkmcnt(0)
	s_barrier
	ds_read_b128 v[0:3], v253
	ds_read_b128 v[24:27], v253 offset:2992
	ds_read_b128 v[36:39], v253 offset:5984
	ds_read_b128 v[28:31], v253 offset:8976
	ds_read_b128 v[40:43], v253 offset:11968
	ds_read_b128 v[32:35], v253 offset:14960
	s_and_saveexec_b64 s[8:9], s[2:3]
	s_cbranch_execz .LBB0_19
; %bb.18:
	ds_read_b128 v[4:7], v253 offset:1632
	ds_read_b128 v[20:23], v253 offset:4624
	;; [unrolled: 1-line block ×6, first 2 shown]
.LBB0_19:
	s_or_b64 exec, exec, s[8:9]
	s_waitcnt lgkmcnt(3)
	v_mul_f64 v[44:45], v[98:99], v[38:39]
	s_waitcnt lgkmcnt(1)
	v_mul_f64 v[46:47], v[94:95], v[42:43]
	v_mul_f64 v[50:51], v[86:87], v[28:29]
	s_waitcnt lgkmcnt(0)
	v_mul_f64 v[54:55], v[90:91], v[32:33]
	v_mul_f64 v[48:49], v[98:99], v[36:37]
	;; [unrolled: 1-line block ×4, first 2 shown]
	s_mov_b32 s8, 0xe8584caa
	v_fma_f64 v[36:37], v[96:97], v[36:37], v[44:45]
	v_fma_f64 v[40:41], v[92:93], v[40:41], v[46:47]
	v_mul_f64 v[44:45], v[82:83], v[24:25]
	v_mul_f64 v[46:47], v[86:87], v[30:31]
	v_fma_f64 v[30:31], v[84:85], v[30:31], -v[50:51]
	v_fma_f64 v[34:35], v[88:89], v[34:35], -v[54:55]
	;; [unrolled: 1-line block ×4, first 2 shown]
	v_mul_f64 v[50:51], v[82:83], v[26:27]
	v_add_f64 v[48:49], v[36:37], v[40:41]
	v_fma_f64 v[26:27], v[80:81], v[26:27], -v[44:45]
	v_fma_f64 v[28:29], v[84:85], v[28:29], v[46:47]
	v_fma_f64 v[32:33], v[88:89], v[32:33], v[56:57]
	v_add_f64 v[52:53], v[30:31], v[34:35]
	v_add_f64 v[44:45], v[0:1], v[36:37]
	v_add_f64 v[46:47], v[38:39], -v[42:43]
	v_fma_f64 v[24:25], v[80:81], v[24:25], v[50:51]
	v_fma_f64 v[0:1], v[48:49], -0.5, v[0:1]
	s_mov_b32 s9, 0xbfebb67a
	s_mov_b32 s11, 0x3febb67a
	v_add_f64 v[48:49], v[28:29], v[32:33]
	v_add_f64 v[50:51], v[28:29], -v[32:33]
	v_fma_f64 v[52:53], v[52:53], -0.5, v[26:27]
	s_mov_b32 s10, s8
	v_add_f64 v[56:57], v[2:3], v[38:39]
	v_fma_f64 v[54:55], v[46:47], s[8:9], v[0:1]
	v_add_f64 v[38:39], v[38:39], v[42:43]
	v_add_f64 v[58:59], v[30:31], -v[34:35]
	v_fma_f64 v[48:49], v[48:49], -0.5, v[24:25]
	v_fma_f64 v[46:47], v[46:47], s[10:11], v[0:1]
	v_fma_f64 v[0:1], v[50:51], s[10:11], v[52:53]
	;; [unrolled: 1-line block ×3, first 2 shown]
	v_add_f64 v[24:25], v[24:25], v[28:29]
	v_add_f64 v[26:27], v[26:27], v[30:31]
	v_add_f64 v[44:45], v[44:45], v[40:41]
	v_fma_f64 v[2:3], v[38:39], -0.5, v[2:3]
	v_add_f64 v[36:37], v[36:37], -v[40:41]
	v_fma_f64 v[28:29], v[58:59], s[8:9], v[48:49]
	v_fma_f64 v[38:39], v[58:59], s[10:11], v[48:49]
	v_mul_f64 v[40:41], v[0:1], s[8:9]
	v_mul_f64 v[48:49], v[50:51], s[8:9]
	v_mul_f64 v[0:1], v[0:1], 0.5
	v_mul_f64 v[30:31], v[50:51], -0.5
	v_add_f64 v[42:43], v[56:57], v[42:43]
	v_add_f64 v[32:33], v[24:25], v[32:33]
	;; [unrolled: 1-line block ×3, first 2 shown]
	v_fma_f64 v[50:51], v[36:37], s[10:11], v[2:3]
	v_fma_f64 v[52:53], v[36:37], s[8:9], v[2:3]
	v_fma_f64 v[36:37], v[28:29], 0.5, v[40:41]
	v_fma_f64 v[40:41], v[38:39], -0.5, v[48:49]
	v_fma_f64 v[48:49], v[28:29], s[10:11], v[0:1]
	v_fma_f64 v[56:57], v[38:39], s[10:11], v[30:31]
	v_add_f64 v[0:1], v[44:45], v[32:33]
	v_add_f64 v[2:3], v[42:43], v[34:35]
	v_add_f64 v[32:33], v[44:45], -v[32:33]
	v_add_f64 v[34:35], v[42:43], -v[34:35]
	v_add_f64 v[24:25], v[54:55], v[36:37]
	v_add_f64 v[28:29], v[46:47], v[40:41]
	;; [unrolled: 1-line block ×4, first 2 shown]
	v_add_f64 v[36:37], v[54:55], -v[36:37]
	v_add_f64 v[38:39], v[50:51], -v[48:49]
	;; [unrolled: 1-line block ×4, first 2 shown]
	ds_write_b128 v254, v[0:3]
	ds_write_b128 v254, v[24:27] offset:2992
	ds_write_b128 v254, v[28:31] offset:5984
	;; [unrolled: 1-line block ×5, first 2 shown]
	s_and_saveexec_b64 s[16:17], s[2:3]
	s_cbranch_execz .LBB0_21
; %bb.20:
	buffer_load_dword v42, off, s[64:67], 0 offset:112 ; 4-byte Folded Reload
	buffer_load_dword v43, off, s[64:67], 0 offset:116 ; 4-byte Folded Reload
	;; [unrolled: 1-line block ×16, first 2 shown]
	s_waitcnt vmcnt(12)
	v_mul_f64 v[0:1], v[44:45], v[16:17]
	s_waitcnt vmcnt(8)
	v_mul_f64 v[2:3], v[36:37], v[8:9]
	;; [unrolled: 2-line block ×3, first 2 shown]
	v_mul_f64 v[32:33], v[48:49], v[150:151]
	buffer_load_dword v48, off, s[64:67], 0 offset:144 ; 4-byte Folded Reload
	buffer_load_dword v49, off, s[64:67], 0 offset:148 ; 4-byte Folded Reload
	;; [unrolled: 1-line block ×4, first 2 shown]
	s_waitcnt vmcnt(4)
	v_mul_f64 v[26:27], v[40:41], v[12:13]
	v_mul_f64 v[28:29], v[44:45], v[18:19]
	;; [unrolled: 1-line block ×3, first 2 shown]
	v_fma_f64 v[0:1], v[42:43], v[18:19], -v[0:1]
	v_fma_f64 v[2:3], v[34:35], v[10:11], -v[2:3]
	;; [unrolled: 1-line block ×3, first 2 shown]
	v_mul_f64 v[24:25], v[40:41], v[14:15]
	v_fma_f64 v[14:15], v[38:39], v[14:15], -v[26:27]
	v_fma_f64 v[16:17], v[42:43], v[16:17], v[28:29]
	v_fma_f64 v[8:9], v[34:35], v[8:9], v[30:31]
	;; [unrolled: 1-line block ×3, first 2 shown]
	v_add_f64 v[36:37], v[6:7], v[0:1]
	v_add_f64 v[34:35], v[2:3], -v[18:19]
	v_fma_f64 v[12:13], v[38:39], v[12:13], v[24:25]
	v_add_f64 v[24:25], v[0:1], v[14:15]
	v_add_f64 v[0:1], v[0:1], -v[14:15]
	v_add_f64 v[30:31], v[8:9], -v[28:29]
	;; [unrolled: 1-line block ×3, first 2 shown]
	v_fma_f64 v[6:7], v[24:25], -0.5, v[6:7]
	s_waitcnt vmcnt(0)
	v_mul_f64 v[10:11], v[50:51], v[20:21]
	v_mul_f64 v[26:27], v[50:51], v[22:23]
	v_fma_f64 v[10:11], v[48:49], v[22:23], -v[10:11]
	v_add_f64 v[22:23], v[2:3], v[18:19]
	v_fma_f64 v[20:21], v[48:49], v[20:21], v[26:27]
	v_add_f64 v[26:27], v[8:9], v[28:29]
	v_add_f64 v[2:3], v[10:11], v[2:3]
	v_fma_f64 v[22:23], v[22:23], -0.5, v[10:11]
	v_add_f64 v[10:11], v[16:17], v[12:13]
	v_fma_f64 v[26:27], v[26:27], -0.5, v[20:21]
	v_add_f64 v[16:17], v[4:5], v[16:17]
	v_add_f64 v[8:9], v[20:21], v[8:9]
	;; [unrolled: 1-line block ×3, first 2 shown]
	v_fma_f64 v[38:39], v[30:31], s[8:9], v[22:23]
	v_fma_f64 v[22:23], v[30:31], s[10:11], v[22:23]
	;; [unrolled: 1-line block ×4, first 2 shown]
	v_add_f64 v[34:35], v[2:3], v[18:19]
	v_fma_f64 v[2:3], v[10:11], -0.5, v[4:5]
	v_fma_f64 v[4:5], v[32:33], s[8:9], v[6:7]
	v_fma_f64 v[18:19], v[32:33], s[10:11], v[6:7]
	v_mul_f64 v[26:27], v[38:39], -0.5
	v_mul_f64 v[30:31], v[22:23], 0.5
	v_mul_f64 v[10:11], v[22:23], s[8:9]
	v_mul_f64 v[6:7], v[38:39], s[8:9]
	v_add_f64 v[8:9], v[8:9], v[28:29]
	v_fma_f64 v[28:29], v[0:1], s[10:11], v[2:3]
	v_fma_f64 v[0:1], v[0:1], s[8:9], v[2:3]
	;; [unrolled: 1-line block ×4, first 2 shown]
	v_add_f64 v[30:31], v[16:17], v[12:13]
	v_fma_f64 v[24:25], v[24:25], 0.5, v[10:11]
	v_fma_f64 v[32:33], v[14:15], -0.5, v[6:7]
	v_add_f64 v[10:11], v[20:21], -v[34:35]
	v_add_f64 v[2:3], v[4:5], -v[22:23]
	v_add_f64 v[14:15], v[4:5], v[22:23]
	v_add_f64 v[22:23], v[20:21], v[34:35]
	;; [unrolled: 1-line block ×3, first 2 shown]
	v_add_f64 v[6:7], v[18:19], -v[26:27]
	v_add_f64 v[18:19], v[18:19], v[26:27]
	v_add_f64 v[16:17], v[0:1], v[24:25]
	v_add_f64 v[12:13], v[28:29], v[32:33]
	v_add_f64 v[8:9], v[30:31], -v[8:9]
	v_add_f64 v[4:5], v[0:1], -v[24:25]
	;; [unrolled: 1-line block ×3, first 2 shown]
	ds_write_b128 v254, v[20:23] offset:1632
	ds_write_b128 v254, v[16:19] offset:4624
	;; [unrolled: 1-line block ×6, first 2 shown]
.LBB0_21:
	s_or_b64 exec, exec, s[16:17]
	s_waitcnt lgkmcnt(0)
	s_barrier
	s_and_b64 exec, exec, s[0:1]
	s_cbranch_execz .LBB0_23
; %bb.22:
	v_lshlrev_b32_e32 v21, 4, v255
	global_load_dwordx4 v[0:3], v21, s[12:13]
	ds_read_b128 v[4:7], v254
	buffer_load_dword v8, off, s[64:67], 0  ; 4-byte Folded Reload
	buffer_load_dword v9, off, s[64:67], 0 offset:4 ; 4-byte Folded Reload
	v_mad_u64_u32 v[14:15], s[0:1], s4, v255, 0
	s_mul_i32 s3, s5, 0x420
	s_mul_i32 s2, s4, 0x420
	s_waitcnt vmcnt(2) lgkmcnt(0)
	v_mul_f64 v[16:17], v[6:7], v[2:3]
	v_mul_f64 v[2:3], v[4:5], v[2:3]
	s_waitcnt vmcnt(1)
	v_mov_b32_e32 v18, v8
	v_mad_u64_u32 v[12:13], s[0:1], s6, v18, 0
	s_waitcnt vmcnt(0)
	ds_read_b128 v[8:11], v254 offset:1056
	v_mad_u64_u32 v[18:19], s[0:1], s7, v18, v[13:14]
	v_fma_f64 v[4:5], v[4:5], v[0:1], v[16:17]
	v_fma_f64 v[2:3], v[0:1], v[6:7], -v[2:3]
	v_mad_u64_u32 v[19:20], s[0:1], s5, v255, v[15:16]
	s_mov_b32 s0, 0x4bc01d34
	s_mov_b32 s1, 0x3f4d347a
	v_mov_b32_e32 v13, v18
	v_lshlrev_b64 v[6:7], 4, v[12:13]
	v_mul_f64 v[0:1], v[4:5], s[0:1]
	v_mul_f64 v[2:3], v[2:3], s[0:1]
	v_mov_b32_e32 v15, v19
	v_mov_b32_e32 v16, s15
	v_lshlrev_b64 v[12:13], 4, v[14:15]
	v_add_co_u32_e32 v4, vcc, s14, v6
	v_addc_co_u32_e32 v5, vcc, v16, v7, vcc
	v_add_co_u32_e32 v4, vcc, v4, v12
	v_addc_co_u32_e32 v5, vcc, v5, v13, vcc
	global_store_dwordx4 v[4:5], v[0:3], off
	global_load_dwordx4 v[0:3], v21, s[12:13] offset:1056
	s_mul_hi_u32 s5, s4, 0x420
	s_add_i32 s3, s5, s3
	v_add_co_u32_e32 v12, vcc, s2, v4
	s_movk_i32 s4, 0x1000
	s_waitcnt vmcnt(0) lgkmcnt(0)
	v_mul_f64 v[6:7], v[10:11], v[2:3]
	v_mul_f64 v[2:3], v[8:9], v[2:3]
	v_fma_f64 v[6:7], v[8:9], v[0:1], v[6:7]
	v_fma_f64 v[2:3], v[0:1], v[10:11], -v[2:3]
	v_mul_f64 v[0:1], v[6:7], s[0:1]
	v_mul_f64 v[2:3], v[2:3], s[0:1]
	v_mov_b32_e32 v6, s3
	v_addc_co_u32_e32 v13, vcc, v5, v6, vcc
	global_store_dwordx4 v[12:13], v[0:3], off
	global_load_dwordx4 v[0:3], v21, s[12:13] offset:2112
	ds_read_b128 v[4:7], v254 offset:2112
	ds_read_b128 v[8:11], v254 offset:3168
	s_waitcnt vmcnt(0) lgkmcnt(1)
	v_mul_f64 v[14:15], v[6:7], v[2:3]
	v_mul_f64 v[2:3], v[4:5], v[2:3]
	v_fma_f64 v[4:5], v[4:5], v[0:1], v[14:15]
	v_fma_f64 v[2:3], v[0:1], v[6:7], -v[2:3]
	v_mul_f64 v[0:1], v[4:5], s[0:1]
	v_mul_f64 v[2:3], v[2:3], s[0:1]
	v_mov_b32_e32 v5, s3
	v_add_co_u32_e32 v4, vcc, s2, v12
	v_addc_co_u32_e32 v5, vcc, v13, v5, vcc
	v_mov_b32_e32 v12, s13
	v_add_co_u32_e32 v18, vcc, s12, v21
	global_store_dwordx4 v[4:5], v[0:3], off
	global_load_dwordx4 v[0:3], v21, s[12:13] offset:3168
	v_addc_co_u32_e32 v19, vcc, 0, v12, vcc
	v_add_co_u32_e32 v12, vcc, s4, v18
	v_addc_co_u32_e32 v13, vcc, 0, v19, vcc
	v_add_co_u32_e32 v14, vcc, s2, v4
	s_movk_i32 s4, 0x2000
	s_waitcnt vmcnt(0) lgkmcnt(0)
	v_mul_f64 v[6:7], v[10:11], v[2:3]
	v_mul_f64 v[2:3], v[8:9], v[2:3]
	v_fma_f64 v[6:7], v[8:9], v[0:1], v[6:7]
	v_fma_f64 v[2:3], v[0:1], v[10:11], -v[2:3]
	v_mov_b32_e32 v8, s3
	v_addc_co_u32_e32 v15, vcc, v5, v8, vcc
	v_mul_f64 v[0:1], v[6:7], s[0:1]
	v_mul_f64 v[2:3], v[2:3], s[0:1]
	global_store_dwordx4 v[14:15], v[0:3], off
	global_load_dwordx4 v[0:3], v[12:13], off offset:128
	ds_read_b128 v[4:7], v254 offset:4224
	ds_read_b128 v[8:11], v254 offset:5280
	s_waitcnt vmcnt(0) lgkmcnt(1)
	v_mul_f64 v[16:17], v[6:7], v[2:3]
	v_mul_f64 v[2:3], v[4:5], v[2:3]
	v_fma_f64 v[4:5], v[4:5], v[0:1], v[16:17]
	v_fma_f64 v[2:3], v[0:1], v[6:7], -v[2:3]
	v_mul_f64 v[0:1], v[4:5], s[0:1]
	v_mul_f64 v[2:3], v[2:3], s[0:1]
	v_mov_b32_e32 v5, s3
	v_add_co_u32_e32 v4, vcc, s2, v14
	v_addc_co_u32_e32 v5, vcc, v15, v5, vcc
	v_add_co_u32_e32 v14, vcc, s2, v4
	global_store_dwordx4 v[4:5], v[0:3], off
	global_load_dwordx4 v[0:3], v[12:13], off offset:1184
	s_waitcnt vmcnt(0) lgkmcnt(0)
	v_mul_f64 v[6:7], v[10:11], v[2:3]
	v_mul_f64 v[2:3], v[8:9], v[2:3]
	v_fma_f64 v[6:7], v[8:9], v[0:1], v[6:7]
	v_fma_f64 v[2:3], v[0:1], v[10:11], -v[2:3]
	v_mul_f64 v[0:1], v[6:7], s[0:1]
	v_mul_f64 v[2:3], v[2:3], s[0:1]
	v_mov_b32_e32 v6, s3
	v_addc_co_u32_e32 v15, vcc, v5, v6, vcc
	global_store_dwordx4 v[14:15], v[0:3], off
	global_load_dwordx4 v[0:3], v[12:13], off offset:2240
	ds_read_b128 v[4:7], v254 offset:6336
	ds_read_b128 v[8:11], v254 offset:7392
	s_waitcnt vmcnt(0) lgkmcnt(1)
	v_mul_f64 v[16:17], v[6:7], v[2:3]
	v_mul_f64 v[2:3], v[4:5], v[2:3]
	v_fma_f64 v[4:5], v[4:5], v[0:1], v[16:17]
	v_fma_f64 v[2:3], v[0:1], v[6:7], -v[2:3]
	v_mul_f64 v[0:1], v[4:5], s[0:1]
	v_mul_f64 v[2:3], v[2:3], s[0:1]
	v_mov_b32_e32 v5, s3
	v_add_co_u32_e32 v4, vcc, s2, v14
	v_addc_co_u32_e32 v5, vcc, v15, v5, vcc
	global_store_dwordx4 v[4:5], v[0:3], off
	global_load_dwordx4 v[0:3], v[12:13], off offset:3296
	v_add_co_u32_e32 v12, vcc, s4, v18
	v_addc_co_u32_e32 v13, vcc, 0, v19, vcc
	v_add_co_u32_e32 v14, vcc, s2, v4
	s_movk_i32 s4, 0x3000
	s_waitcnt vmcnt(0) lgkmcnt(0)
	v_mul_f64 v[6:7], v[10:11], v[2:3]
	v_mul_f64 v[2:3], v[8:9], v[2:3]
	v_fma_f64 v[6:7], v[8:9], v[0:1], v[6:7]
	v_fma_f64 v[2:3], v[0:1], v[10:11], -v[2:3]
	v_mov_b32_e32 v8, s3
	v_addc_co_u32_e32 v15, vcc, v5, v8, vcc
	v_mul_f64 v[0:1], v[6:7], s[0:1]
	v_mul_f64 v[2:3], v[2:3], s[0:1]
	global_store_dwordx4 v[14:15], v[0:3], off
	global_load_dwordx4 v[0:3], v[12:13], off offset:256
	ds_read_b128 v[4:7], v254 offset:8448
	ds_read_b128 v[8:11], v254 offset:9504
	s_waitcnt vmcnt(0) lgkmcnt(1)
	v_mul_f64 v[16:17], v[6:7], v[2:3]
	v_mul_f64 v[2:3], v[4:5], v[2:3]
	v_fma_f64 v[4:5], v[4:5], v[0:1], v[16:17]
	v_fma_f64 v[2:3], v[0:1], v[6:7], -v[2:3]
	v_mul_f64 v[0:1], v[4:5], s[0:1]
	v_mul_f64 v[2:3], v[2:3], s[0:1]
	v_mov_b32_e32 v5, s3
	v_add_co_u32_e32 v4, vcc, s2, v14
	v_addc_co_u32_e32 v5, vcc, v15, v5, vcc
	v_add_co_u32_e32 v14, vcc, s2, v4
	global_store_dwordx4 v[4:5], v[0:3], off
	global_load_dwordx4 v[0:3], v[12:13], off offset:1312
	s_waitcnt vmcnt(0) lgkmcnt(0)
	v_mul_f64 v[6:7], v[10:11], v[2:3]
	v_mul_f64 v[2:3], v[8:9], v[2:3]
	v_fma_f64 v[6:7], v[8:9], v[0:1], v[6:7]
	v_fma_f64 v[2:3], v[0:1], v[10:11], -v[2:3]
	v_mul_f64 v[0:1], v[6:7], s[0:1]
	v_mul_f64 v[2:3], v[2:3], s[0:1]
	v_mov_b32_e32 v6, s3
	v_addc_co_u32_e32 v15, vcc, v5, v6, vcc
	global_store_dwordx4 v[14:15], v[0:3], off
	global_load_dwordx4 v[0:3], v[12:13], off offset:2368
	ds_read_b128 v[4:7], v254 offset:10560
	ds_read_b128 v[8:11], v254 offset:11616
	s_waitcnt vmcnt(0) lgkmcnt(1)
	v_mul_f64 v[16:17], v[6:7], v[2:3]
	v_mul_f64 v[2:3], v[4:5], v[2:3]
	v_fma_f64 v[4:5], v[4:5], v[0:1], v[16:17]
	v_fma_f64 v[2:3], v[0:1], v[6:7], -v[2:3]
	v_mul_f64 v[0:1], v[4:5], s[0:1]
	v_mul_f64 v[2:3], v[2:3], s[0:1]
	v_mov_b32_e32 v5, s3
	v_add_co_u32_e32 v4, vcc, s2, v14
	v_addc_co_u32_e32 v5, vcc, v15, v5, vcc
	global_store_dwordx4 v[4:5], v[0:3], off
	global_load_dwordx4 v[0:3], v[12:13], off offset:3424
	;; [unrolled: 55-line block ×3, first 2 shown]
	s_waitcnt vmcnt(0) lgkmcnt(0)
	v_mul_f64 v[6:7], v[10:11], v[2:3]
	v_mul_f64 v[2:3], v[8:9], v[2:3]
	v_fma_f64 v[6:7], v[8:9], v[0:1], v[6:7]
	v_fma_f64 v[2:3], v[0:1], v[10:11], -v[2:3]
	v_mov_b32_e32 v9, s3
	v_mul_f64 v[0:1], v[6:7], s[0:1]
	v_mul_f64 v[2:3], v[2:3], s[0:1]
	v_add_co_u32_e32 v6, vcc, s4, v18
	v_addc_co_u32_e32 v7, vcc, 0, v19, vcc
	v_add_co_u32_e32 v8, vcc, s2, v4
	v_addc_co_u32_e32 v9, vcc, v5, v9, vcc
	global_store_dwordx4 v[8:9], v[0:3], off
	global_load_dwordx4 v[0:3], v[6:7], off offset:512
	ds_read_b128 v[4:7], v254 offset:16896
	s_waitcnt vmcnt(0) lgkmcnt(0)
	v_mul_f64 v[10:11], v[6:7], v[2:3]
	v_mul_f64 v[2:3], v[4:5], v[2:3]
	v_fma_f64 v[4:5], v[4:5], v[0:1], v[10:11]
	v_fma_f64 v[2:3], v[0:1], v[6:7], -v[2:3]
	v_mul_f64 v[0:1], v[4:5], s[0:1]
	v_mul_f64 v[2:3], v[2:3], s[0:1]
	v_mov_b32_e32 v5, s3
	v_add_co_u32_e32 v4, vcc, s2, v8
	v_addc_co_u32_e32 v5, vcc, v9, v5, vcc
	global_store_dwordx4 v[4:5], v[0:3], off
.LBB0_23:
	s_endpgm
	.section	.rodata,"a",@progbits
	.p2align	6, 0x0
	.amdhsa_kernel bluestein_single_fwd_len1122_dim1_dp_op_CI_CI
		.amdhsa_group_segment_fixed_size 35904
		.amdhsa_private_segment_fixed_size 676
		.amdhsa_kernarg_size 104
		.amdhsa_user_sgpr_count 6
		.amdhsa_user_sgpr_private_segment_buffer 1
		.amdhsa_user_sgpr_dispatch_ptr 0
		.amdhsa_user_sgpr_queue_ptr 0
		.amdhsa_user_sgpr_kernarg_segment_ptr 1
		.amdhsa_user_sgpr_dispatch_id 0
		.amdhsa_user_sgpr_flat_scratch_init 0
		.amdhsa_user_sgpr_private_segment_size 0
		.amdhsa_uses_dynamic_stack 0
		.amdhsa_system_sgpr_private_segment_wavefront_offset 1
		.amdhsa_system_sgpr_workgroup_id_x 1
		.amdhsa_system_sgpr_workgroup_id_y 0
		.amdhsa_system_sgpr_workgroup_id_z 0
		.amdhsa_system_sgpr_workgroup_info 0
		.amdhsa_system_vgpr_workitem_id 0
		.amdhsa_next_free_vgpr 256
		.amdhsa_next_free_sgpr 68
		.amdhsa_reserve_vcc 1
		.amdhsa_reserve_flat_scratch 0
		.amdhsa_float_round_mode_32 0
		.amdhsa_float_round_mode_16_64 0
		.amdhsa_float_denorm_mode_32 3
		.amdhsa_float_denorm_mode_16_64 3
		.amdhsa_dx10_clamp 1
		.amdhsa_ieee_mode 1
		.amdhsa_fp16_overflow 0
		.amdhsa_exception_fp_ieee_invalid_op 0
		.amdhsa_exception_fp_denorm_src 0
		.amdhsa_exception_fp_ieee_div_zero 0
		.amdhsa_exception_fp_ieee_overflow 0
		.amdhsa_exception_fp_ieee_underflow 0
		.amdhsa_exception_fp_ieee_inexact 0
		.amdhsa_exception_int_div_zero 0
	.end_amdhsa_kernel
	.text
.Lfunc_end0:
	.size	bluestein_single_fwd_len1122_dim1_dp_op_CI_CI, .Lfunc_end0-bluestein_single_fwd_len1122_dim1_dp_op_CI_CI
                                        ; -- End function
	.section	.AMDGPU.csdata,"",@progbits
; Kernel info:
; codeLenInByte = 31688
; NumSgprs: 72
; NumVgprs: 256
; ScratchSize: 676
; MemoryBound: 0
; FloatMode: 240
; IeeeMode: 1
; LDSByteSize: 35904 bytes/workgroup (compile time only)
; SGPRBlocks: 8
; VGPRBlocks: 63
; NumSGPRsForWavesPerEU: 72
; NumVGPRsForWavesPerEU: 256
; Occupancy: 1
; WaveLimiterHint : 1
; COMPUTE_PGM_RSRC2:SCRATCH_EN: 1
; COMPUTE_PGM_RSRC2:USER_SGPR: 6
; COMPUTE_PGM_RSRC2:TRAP_HANDLER: 0
; COMPUTE_PGM_RSRC2:TGID_X_EN: 1
; COMPUTE_PGM_RSRC2:TGID_Y_EN: 0
; COMPUTE_PGM_RSRC2:TGID_Z_EN: 0
; COMPUTE_PGM_RSRC2:TIDIG_COMP_CNT: 0
	.type	__hip_cuid_d4cea067ad27c0cf,@object ; @__hip_cuid_d4cea067ad27c0cf
	.section	.bss,"aw",@nobits
	.globl	__hip_cuid_d4cea067ad27c0cf
__hip_cuid_d4cea067ad27c0cf:
	.byte	0                               ; 0x0
	.size	__hip_cuid_d4cea067ad27c0cf, 1

	.ident	"AMD clang version 19.0.0git (https://github.com/RadeonOpenCompute/llvm-project roc-6.4.0 25133 c7fe45cf4b819c5991fe208aaa96edf142730f1d)"
	.section	".note.GNU-stack","",@progbits
	.addrsig
	.addrsig_sym __hip_cuid_d4cea067ad27c0cf
	.amdgpu_metadata
---
amdhsa.kernels:
  - .args:
      - .actual_access:  read_only
        .address_space:  global
        .offset:         0
        .size:           8
        .value_kind:     global_buffer
      - .actual_access:  read_only
        .address_space:  global
        .offset:         8
        .size:           8
        .value_kind:     global_buffer
      - .actual_access:  read_only
        .address_space:  global
        .offset:         16
        .size:           8
        .value_kind:     global_buffer
      - .actual_access:  read_only
        .address_space:  global
        .offset:         24
        .size:           8
        .value_kind:     global_buffer
      - .actual_access:  read_only
        .address_space:  global
        .offset:         32
        .size:           8
        .value_kind:     global_buffer
      - .offset:         40
        .size:           8
        .value_kind:     by_value
      - .address_space:  global
        .offset:         48
        .size:           8
        .value_kind:     global_buffer
      - .address_space:  global
        .offset:         56
        .size:           8
        .value_kind:     global_buffer
      - .address_space:  global
        .offset:         64
        .size:           8
        .value_kind:     global_buffer
      - .address_space:  global
        .offset:         72
        .size:           8
        .value_kind:     global_buffer
      - .offset:         80
        .size:           4
        .value_kind:     by_value
      - .address_space:  global
        .offset:         88
        .size:           8
        .value_kind:     global_buffer
      - .address_space:  global
        .offset:         96
        .size:           8
        .value_kind:     global_buffer
    .group_segment_fixed_size: 35904
    .kernarg_segment_align: 8
    .kernarg_segment_size: 104
    .language:       OpenCL C
    .language_version:
      - 2
      - 0
    .max_flat_workgroup_size: 204
    .name:           bluestein_single_fwd_len1122_dim1_dp_op_CI_CI
    .private_segment_fixed_size: 676
    .sgpr_count:     72
    .sgpr_spill_count: 0
    .symbol:         bluestein_single_fwd_len1122_dim1_dp_op_CI_CI.kd
    .uniform_work_group_size: 1
    .uses_dynamic_stack: false
    .vgpr_count:     256
    .vgpr_spill_count: 221
    .wavefront_size: 64
amdhsa.target:   amdgcn-amd-amdhsa--gfx906
amdhsa.version:
  - 1
  - 2
...

	.end_amdgpu_metadata
